;; amdgpu-corpus repo=zjin-lcf/HeCBench kind=compiled arch=gfx1201 opt=O3
	.amdgcn_target "amdgcn-amd-amdhsa--gfx1201"
	.amdhsa_code_object_version 6
	.section	.text._Z30addBiasResidualPostLayerNormV2IfLi64EEvPT_PKS0_S3_S3_S3_fi,"axG",@progbits,_Z30addBiasResidualPostLayerNormV2IfLi64EEvPT_PKS0_S3_S3_S3_fi,comdat
	.protected	_Z30addBiasResidualPostLayerNormV2IfLi64EEvPT_PKS0_S3_S3_S3_fi ; -- Begin function _Z30addBiasResidualPostLayerNormV2IfLi64EEvPT_PKS0_S3_S3_S3_fi
	.globl	_Z30addBiasResidualPostLayerNormV2IfLi64EEvPT_PKS0_S3_S3_S3_fi
	.p2align	8
	.type	_Z30addBiasResidualPostLayerNormV2IfLi64EEvPT_PKS0_S3_S3_S3_fi,@function
_Z30addBiasResidualPostLayerNormV2IfLi64EEvPT_PKS0_S3_S3_S3_fi: ; @_Z30addBiasResidualPostLayerNormV2IfLi64EEvPT_PKS0_S3_S3_S3_fi
; %bb.0:
	s_clause 0x2
	s_load_b64 s[6:7], s[0:1], 0x28
	s_load_b32 s4, s[0:1], 0x3c
	s_load_b64 s[2:3], s[0:1], 0x10
	v_lshlrev_b32_e32 v4, 3, v0
	s_load_b128 s[8:11], s[0:1], 0x0
	s_wait_kmcnt 0x0
	s_mul_i32 s5, s7, ttmp9
	s_and_b32 s4, s4, 0xffff
	s_lshr_b32 s12, s5, 31
	global_load_b64 v[11:12], v4, s[2:3]
	s_add_co_i32 s5, s5, s12
	s_delay_alu instid0(SALU_CYCLE_1) | instskip(NEXT) | instid1(SALU_CYCLE_1)
	s_ashr_i32 s5, s5, 1
	v_add_nc_u32_e32 v1, s5, v0
	v_add_co_u32 v3, s5, s2, v4
	s_wait_alu 0xf1ff
	v_add_co_ci_u32_e64 v6, null, s3, 0, s5
	s_delay_alu instid0(VALU_DEP_3) | instskip(SKIP_4) | instid1(VALU_DEP_1)
	v_add_nc_u32_e32 v5, s4, v1
	s_lshl_b32 s5, s4, 3
	v_ashrrev_i32_e32 v2, 31, v1
	s_wait_alu 0xfffe
	v_add_co_u32 v7, vcc_lo, v3, s5
	v_add_co_ci_u32_e64 v8, null, 0, v6, vcc_lo
	v_ashrrev_i32_e32 v6, 31, v5
	v_lshlrev_b64_e32 v[13:14], 3, v[1:2]
	global_load_b64 v[15:16], v[7:8], off
	v_add_nc_u32_e32 v9, s4, v5
	v_lshlrev_b64_e32 v[5:6], 3, v[5:6]
	v_add_co_u32 v2, vcc_lo, s8, v13
	s_wait_alu 0xfffd
	v_add_co_ci_u32_e64 v3, null, s9, v14, vcc_lo
	v_add_co_u32 v13, vcc_lo, s10, v13
	v_ashrrev_i32_e32 v10, 31, v9
	s_wait_alu 0xfffd
	v_add_co_ci_u32_e64 v14, null, s11, v14, vcc_lo
	v_add_co_u32 v18, vcc_lo, s8, v5
	v_add_nc_u32_e32 v17, s4, v9
	s_wait_alu 0xfffd
	v_add_co_ci_u32_e64 v19, null, s9, v6, vcc_lo
	v_add_co_u32 v5, vcc_lo, s10, v5
	s_wait_alu 0xfffd
	v_add_co_ci_u32_e64 v6, null, s11, v6, vcc_lo
	v_lshlrev_b64_e32 v[9:10], 3, v[9:10]
	global_load_b64 v[20:21], v[2:3], off
	global_load_b64 v[13:14], v[13:14], off
	;; [unrolled: 1-line block ×4, first 2 shown]
	v_ashrrev_i32_e32 v18, 31, v17
	v_add_co_u32 v5, vcc_lo, s8, v9
	s_delay_alu instid0(VALU_DEP_2)
	v_lshlrev_b64_e32 v[17:18], 3, v[17:18]
	s_wait_alu 0xfffd
	v_add_co_ci_u32_e64 v6, null, s9, v10, vcc_lo
	v_add_co_u32 v9, vcc_lo, s10, v9
	s_wait_alu 0xfffd
	v_add_co_ci_u32_e64 v10, null, s11, v10, vcc_lo
	v_add_co_u32 v7, vcc_lo, v7, s5
	;; [unrolled: 3-line block ×4, first 2 shown]
	s_wait_alu 0xfffd
	v_add_co_ci_u32_e64 v18, null, s11, v18, vcc_lo
	global_load_b64 v[28:29], v[5:6], off
	global_load_b64 v[9:10], v[9:10], off
	;; [unrolled: 1-line block ×5, first 2 shown]
	v_add_co_u32 v5, vcc_lo, v7, s5
	s_wait_alu 0xfffd
	v_add_co_ci_u32_e64 v6, null, 0, v8, vcc_lo
	v_mbcnt_lo_u32_b32 v17, -1, 0
	s_add_nc_u64 s[4:5], s[0:1], 48
	global_load_b64 v[34:35], v[5:6], off
	s_wait_loadcnt 0x8
	v_add_f32_e32 v5, v20, v13
	s_wait_loadcnt 0x6
	v_dual_add_f32 v7, v21, v14 :: v_dual_add_f32 v8, v22, v24
	v_or_b32_e32 v14, 32, v17
	v_xor_b32_e32 v21, 1, v17
	v_add_f32_e32 v6, v5, v11
	s_delay_alu instid0(VALU_DEP_4) | instskip(NEXT) | instid1(VALU_DEP_4)
	v_add_f32_e32 v8, v8, v15
	v_cmp_gt_i32_e32 vcc_lo, 64, v14
	s_wait_loadcnt 0x4
	v_dual_add_f32 v10, v29, v10 :: v_dual_add_f32 v5, v7, v12
	s_wait_loadcnt 0x1
	v_add_f32_e32 v13, v26, v32
	s_delay_alu instid0(VALU_DEP_2) | instskip(NEXT) | instid1(VALU_DEP_3)
	v_dual_add_f32 v18, v10, v31 :: v_dual_add_f32 v7, v23, v25
	v_add_f32_e32 v12, 0, v5
	v_add_f32_e32 v10, v27, v33
	s_wait_loadcnt 0x0
	s_delay_alu instid0(VALU_DEP_1) | instskip(NEXT) | instid1(VALU_DEP_1)
	v_dual_add_f32 v7, v7, v16 :: v_dual_add_f32 v10, v10, v35
	v_dual_add_f32 v11, 0, v6 :: v_dual_add_f32 v12, v7, v12
	s_delay_alu instid0(VALU_DEP_1) | instskip(SKIP_1) | instid1(VALU_DEP_1)
	v_dual_add_f32 v11, v8, v11 :: v_dual_add_f32 v12, v18, v12
	v_add_f32_e32 v9, v28, v9
	v_add_f32_e32 v9, v9, v30
	s_delay_alu instid0(VALU_DEP_1) | instskip(SKIP_3) | instid1(VALU_DEP_1)
	v_add_f32_e32 v15, v9, v11
	v_add_f32_e32 v11, v13, v34
	s_wait_alu 0xfffd
	v_dual_cndmask_b32 v13, v17, v14 :: v_dual_add_f32 v14, v10, v12
	v_dual_add_f32 v15, v11, v15 :: v_dual_lshlrev_b32 v12, 2, v13
	v_xor_b32_e32 v13, 16, v17
	s_delay_alu instid0(VALU_DEP_1) | instskip(SKIP_1) | instid1(VALU_DEP_3)
	v_cmp_gt_i32_e32 vcc_lo, 64, v13
	s_wait_alu 0xfffd
	v_dual_add_f32 v14, v15, v14 :: v_dual_cndmask_b32 v13, v17, v13
	ds_bpermute_b32 v15, v12, v14
	v_lshlrev_b32_e32 v13, 2, v13
	s_wait_dscnt 0x0
	v_add_f32_e32 v15, v14, v15
	v_xor_b32_e32 v14, 8, v17
	ds_bpermute_b32 v16, v13, v15
	v_cmp_gt_i32_e32 vcc_lo, 64, v14
	s_wait_alu 0xfffd
	v_cndmask_b32_e32 v14, v17, v14, vcc_lo
	s_delay_alu instid0(VALU_DEP_1)
	v_lshlrev_b32_e32 v14, 2, v14
	s_wait_dscnt 0x0
	v_add_f32_e32 v16, v15, v16
	v_xor_b32_e32 v15, 4, v17
	ds_bpermute_b32 v19, v14, v16
	v_cmp_gt_i32_e32 vcc_lo, 64, v15
	s_wait_alu 0xfffd
	v_cndmask_b32_e32 v15, v17, v15, vcc_lo
	s_delay_alu instid0(VALU_DEP_1)
	v_lshlrev_b32_e32 v15, 2, v15
	s_wait_dscnt 0x0
	v_add_f32_e32 v19, v16, v19
	v_xor_b32_e32 v16, 2, v17
	ds_bpermute_b32 v20, v15, v19
	v_cmp_gt_i32_e32 vcc_lo, 64, v16
	s_wait_alu 0xfffd
	v_cndmask_b32_e32 v16, v17, v16, vcc_lo
	v_cmp_gt_i32_e32 vcc_lo, 64, v21
	s_wait_alu 0xfffd
	s_delay_alu instid0(VALU_DEP_2) | instskip(SKIP_1) | instid1(VALU_DEP_2)
	v_dual_cndmask_b32 v17, v17, v21 :: v_dual_lshlrev_b32 v16, 2, v16
	v_mov_b32_e32 v21, 0
	v_lshlrev_b32_e32 v17, 2, v17
	s_wait_dscnt 0x0
	v_add_f32_e32 v19, v19, v20
	ds_bpermute_b32 v20, v16, v19
	s_wait_dscnt 0x0
	v_add_f32_e32 v22, v19, v20
	v_and_b32_e32 v20, 63, v0
	v_lshrrev_b32_e32 v19, 4, v0
	ds_bpermute_b32 v23, v17, v22
	v_cmp_eq_u32_e64 s2, 0, v20
	s_and_saveexec_b32 s3, s2
	s_cbranch_execz .LBB0_2
; %bb.1:
	s_wait_dscnt 0x0
	v_add_f32_e32 v22, v22, v23
	ds_store_b32 v19, v22
.LBB0_2:
	s_wait_alu 0xfffe
	s_or_b32 exec_lo, exec_lo, s3
	s_wait_dscnt 0x0
	s_barrier_signal -1
	s_barrier_wait -1
	global_inv scope:SCOPE_SE
	s_load_b32 s5, s[4:5], 0xc
	v_lshlrev_b32_e32 v20, 2, v20
	s_wait_kmcnt 0x0
	s_bfe_u32 s3, s5, 0xa0006
	s_wait_alu 0xfffe
	v_cmp_gt_u32_e64 s3, s3, v0
	s_and_saveexec_b32 s4, s3
; %bb.3:
	ds_load_b32 v21, v20
; %bb.4:
	s_wait_alu 0xfffe
	s_or_b32 exec_lo, exec_lo, s4
	s_wait_dscnt 0x0
	ds_bpermute_b32 v22, v12, v21
	v_cmp_eq_u32_e64 s4, 0, v0
	s_cvt_f32_i32 s7, s7
	s_wait_dscnt 0x0
	v_add_f32_e32 v21, v21, v22
	ds_bpermute_b32 v22, v13, v21
	s_wait_dscnt 0x0
	v_add_f32_e32 v21, v21, v22
	ds_bpermute_b32 v22, v14, v21
	;; [unrolled: 3-line block ×5, first 2 shown]
	s_and_saveexec_b32 s10, s4
	s_cbranch_execz .LBB0_6
; %bb.5:
	s_wait_dscnt 0x0
	v_add_f32_e32 v0, v21, v22
	s_delay_alu instid0(VALU_DEP_1) | instskip(SKIP_1) | instid1(VALU_DEP_2)
	v_div_scale_f32 v21, null, s7, s7, v0
	v_div_scale_f32 v24, vcc_lo, v0, s7, v0
	v_rcp_f32_e32 v22, v21
	s_delay_alu instid0(TRANS32_DEP_1) | instskip(NEXT) | instid1(VALU_DEP_1)
	v_fma_f32 v23, -v21, v22, 1.0
	v_fmac_f32_e32 v22, v23, v22
	s_delay_alu instid0(VALU_DEP_1) | instskip(NEXT) | instid1(VALU_DEP_1)
	v_mul_f32_e32 v23, v24, v22
	v_fma_f32 v25, -v21, v23, v24
	s_delay_alu instid0(VALU_DEP_1) | instskip(NEXT) | instid1(VALU_DEP_1)
	v_fmac_f32_e32 v23, v25, v22
	v_fma_f32 v21, -v21, v23, v24
	s_wait_alu 0xfffd
	s_delay_alu instid0(VALU_DEP_1) | instskip(NEXT) | instid1(VALU_DEP_1)
	v_div_fmas_f32 v21, v21, v22, v23
	v_div_fixup_f32 v0, v21, s7, v0
	v_mov_b32_e32 v21, 0
	ds_store_b32 v21, v0 offset:68
.LBB0_6:
	s_wait_alu 0xfffe
	s_or_b32 exec_lo, exec_lo, s10
	v_mov_b32_e32 v21, 0
	s_wait_loadcnt_dscnt 0x0
	s_barrier_signal -1
	s_barrier_wait -1
	global_inv scope:SCOPE_SE
	ds_load_b32 v22, v21 offset:68
	s_wait_dscnt 0x0
	v_sub_f32_e32 v0, v5, v22
	v_sub_f32_e32 v5, v7, v22
	;; [unrolled: 1-line block ×5, first 2 shown]
	s_delay_alu instid0(VALU_DEP_4) | instskip(SKIP_1) | instid1(VALU_DEP_3)
	v_dual_mul_f32 v18, v0, v0 :: v_dual_mul_f32 v23, v5, v5
	v_sub_f32_e32 v10, v10, v22
	v_dual_mul_f32 v24, v8, v8 :: v_dual_sub_f32 v9, v9, v22
	s_delay_alu instid0(VALU_DEP_3) | instskip(NEXT) | instid1(VALU_DEP_2)
	v_dual_fmac_f32 v18, v7, v7 :: v_dual_fmac_f32 v23, v6, v6
	v_dual_fmac_f32 v24, v9, v9 :: v_dual_sub_f32 v11, v11, v22
	s_delay_alu instid0(VALU_DEP_2) | instskip(SKIP_1) | instid1(VALU_DEP_2)
	v_add_f32_e32 v18, v18, v23
	v_mul_f32_e32 v22, v10, v10
	v_add_f32_e32 v18, v18, v24
	s_delay_alu instid0(VALU_DEP_2) | instskip(NEXT) | instid1(VALU_DEP_1)
	v_fmac_f32_e32 v22, v11, v11
	v_add_f32_e32 v18, v18, v22
	ds_bpermute_b32 v22, v12, v18
	s_wait_dscnt 0x0
	v_add_f32_e32 v18, v18, v22
	ds_bpermute_b32 v22, v13, v18
	s_wait_dscnt 0x0
	v_add_f32_e32 v18, v18, v22
	ds_bpermute_b32 v22, v14, v18
	s_wait_dscnt 0x0
	v_add_f32_e32 v18, v18, v22
	ds_bpermute_b32 v22, v15, v18
	s_wait_dscnt 0x0
	v_add_f32_e32 v18, v18, v22
	ds_bpermute_b32 v22, v16, v18
	s_wait_dscnt 0x0
	v_add_f32_e32 v18, v18, v22
	ds_bpermute_b32 v22, v17, v18
	s_and_saveexec_b32 s10, s2
	s_cbranch_execz .LBB0_8
; %bb.7:
	s_wait_dscnt 0x0
	v_add_f32_e32 v18, v18, v22
	ds_store_b32 v19, v18
.LBB0_8:
	s_wait_alu 0xfffe
	s_or_b32 exec_lo, exec_lo, s10
	s_load_b128 s[12:15], s[0:1], 0x18
	s_wait_loadcnt_dscnt 0x0
	s_barrier_signal -1
	s_barrier_wait -1
	global_inv scope:SCOPE_SE
	s_and_saveexec_b32 s0, s3
; %bb.9:
	ds_load_b32 v21, v20
; %bb.10:
	s_or_b32 exec_lo, exec_lo, s0
	s_wait_dscnt 0x0
	ds_bpermute_b32 v12, v12, v21
	s_wait_dscnt 0x0
	v_add_f32_e32 v12, v21, v12
	ds_bpermute_b32 v13, v13, v12
	s_wait_dscnt 0x0
	v_add_f32_e32 v12, v12, v13
	;; [unrolled: 3-line block ×5, first 2 shown]
	ds_bpermute_b32 v13, v17, v12
	s_and_saveexec_b32 s0, s4
	s_cbranch_execz .LBB0_12
; %bb.11:
	s_wait_dscnt 0x0
	v_add_f32_e32 v12, v12, v13
	s_delay_alu instid0(VALU_DEP_1) | instskip(SKIP_1) | instid1(VALU_DEP_2)
	v_div_scale_f32 v13, null, s7, s7, v12
	v_div_scale_f32 v16, vcc_lo, v12, s7, v12
	v_rcp_f32_e32 v14, v13
	s_delay_alu instid0(TRANS32_DEP_1) | instskip(NEXT) | instid1(VALU_DEP_1)
	v_fma_f32 v15, -v13, v14, 1.0
	v_fmac_f32_e32 v14, v15, v14
	s_delay_alu instid0(VALU_DEP_1) | instskip(NEXT) | instid1(VALU_DEP_1)
	v_mul_f32_e32 v15, v16, v14
	v_fma_f32 v17, -v13, v15, v16
	s_delay_alu instid0(VALU_DEP_1) | instskip(NEXT) | instid1(VALU_DEP_1)
	v_fmac_f32_e32 v15, v17, v14
	v_fma_f32 v13, -v13, v15, v16
	s_wait_alu 0xfffd
	s_delay_alu instid0(VALU_DEP_1) | instskip(NEXT) | instid1(VALU_DEP_1)
	v_div_fmas_f32 v13, v13, v14, v15
	v_div_fixup_f32 v12, v13, s7, v12
	s_delay_alu instid0(VALU_DEP_1) | instskip(NEXT) | instid1(VALU_DEP_1)
	v_add_f32_e32 v12, s6, v12
	v_mul_f32_e32 v13, 0x4b800000, v12
	v_cmp_gt_f32_e32 vcc_lo, 0x800000, v12
	s_wait_alu 0xfffd
	s_delay_alu instid0(VALU_DEP_2) | instskip(NEXT) | instid1(VALU_DEP_1)
	v_cndmask_b32_e32 v12, v12, v13, vcc_lo
	v_rsq_f32_e32 v12, v12
	s_delay_alu instid0(TRANS32_DEP_1) | instskip(NEXT) | instid1(VALU_DEP_1)
	v_mul_f32_e32 v13, 0x45800000, v12
	v_dual_cndmask_b32 v12, v12, v13 :: v_dual_mov_b32 v13, 0
	ds_store_b32 v13, v12 offset:64
.LBB0_12:
	s_or_b32 exec_lo, exec_lo, s0
	s_wait_kmcnt 0x0
	v_add_co_u32 v12, s1, s12, v4
	s_and_b32 s0, 0xffff, s5
	s_wait_dscnt 0x0
	v_add_co_ci_u32_e64 v13, null, s13, 0, s1
	v_add_co_u32 v20, s2, s14, v4
	s_lshl_b32 s1, s0, 3
	v_add_co_ci_u32_e64 v21, null, s15, 0, s2
	s_wait_alu 0xfffe
	v_add_co_u32 v12, vcc_lo, v12, s1
	s_wait_alu 0xfffd
	v_add_co_ci_u32_e64 v13, null, 0, v13, vcc_lo
	v_add_co_u32 v20, vcc_lo, v20, s1
	s_wait_alu 0xfffd
	v_add_co_ci_u32_e64 v21, null, 0, v21, vcc_lo
	s_wait_loadcnt 0x0
	s_barrier_signal -1
	s_barrier_wait -1
	global_inv scope:SCOPE_SE
	s_clause 0x1
	global_load_b64 v[14:15], v4, s[12:13]
	global_load_b64 v[16:17], v4, s[14:15]
	global_load_b64 v[18:19], v[12:13], off
	v_add_co_u32 v12, vcc_lo, v12, s1
	s_wait_alu 0xfffd
	v_add_co_ci_u32_e64 v13, null, 0, v13, vcc_lo
	v_add_co_u32 v22, vcc_lo, v20, s1
	s_wait_alu 0xfffd
	v_add_co_ci_u32_e64 v23, null, 0, v21, vcc_lo
	;; [unrolled: 3-line block ×4, first 2 shown]
	global_load_b64 v[20:21], v[20:21], off
	global_load_b64 v[12:13], v[12:13], off
	;; [unrolled: 1-line block ×5, first 2 shown]
	v_dual_mov_b32 v1, 0 :: v_dual_add_nc_u32 v28, s0, v1
	s_delay_alu instid0(VALU_DEP_1) | instskip(SKIP_3) | instid1(VALU_DEP_1)
	v_ashrrev_i32_e32 v29, 31, v28
	ds_load_b32 v1, v1 offset:64
	v_add_nc_u32_e32 v30, s0, v28
	v_lshlrev_b64_e32 v[28:29], 3, v[28:29]
	v_add_co_u32 v28, vcc_lo, s8, v28
	s_wait_alu 0xfffd
	s_delay_alu instid0(VALU_DEP_2)
	v_add_co_ci_u32_e64 v29, null, s9, v29, vcc_lo
	s_wait_dscnt 0x0
	v_dual_mul_f32 v5, v1, v5 :: v_dual_add_nc_u32 v32, s0, v30
	v_ashrrev_i32_e32 v31, 31, v30
	v_mul_f32_e32 v4, v1, v7
	v_mul_f32_e32 v7, v1, v9
	v_mul_f32_e32 v0, v1, v0
	v_ashrrev_i32_e32 v33, 31, v32
	v_lshlrev_b64_e32 v[30:31], 3, v[30:31]
	v_mul_f32_e32 v6, v1, v6
	v_mul_f32_e32 v8, v1, v8
	;; [unrolled: 1-line block ×3, first 2 shown]
	v_lshlrev_b64_e32 v[32:33], 3, v[32:33]
	v_mul_f32_e32 v1, v1, v10
	v_add_co_u32 v30, vcc_lo, s8, v30
	s_wait_alu 0xfffd
	v_add_co_ci_u32_e64 v31, null, s9, v31, vcc_lo
	s_wait_loadcnt 0x6
	v_fma_f32 v17, v0, v15, v17
	v_fmac_f32_e32 v16, v4, v14
	v_add_co_u32 v0, vcc_lo, s8, v32
	s_wait_loadcnt 0x4
	v_fma_f32 v21, v5, v19, v21
	v_fmac_f32_e32 v20, v6, v18
	s_wait_loadcnt 0x2
	v_fma_f32 v23, v8, v13, v23
	v_fmac_f32_e32 v22, v7, v12
	;; [unrolled: 3-line block ×3, first 2 shown]
	s_wait_alu 0xfffd
	v_add_co_ci_u32_e64 v1, null, s9, v33, vcc_lo
	s_clause 0x3
	global_store_b64 v[2:3], v[16:17], off
	global_store_b64 v[28:29], v[20:21], off
	;; [unrolled: 1-line block ×4, first 2 shown]
	s_endpgm
	.section	.rodata,"a",@progbits
	.p2align	6, 0x0
	.amdhsa_kernel _Z30addBiasResidualPostLayerNormV2IfLi64EEvPT_PKS0_S3_S3_S3_fi
		.amdhsa_group_segment_fixed_size 72
		.amdhsa_private_segment_fixed_size 0
		.amdhsa_kernarg_size 304
		.amdhsa_user_sgpr_count 2
		.amdhsa_user_sgpr_dispatch_ptr 0
		.amdhsa_user_sgpr_queue_ptr 0
		.amdhsa_user_sgpr_kernarg_segment_ptr 1
		.amdhsa_user_sgpr_dispatch_id 0
		.amdhsa_user_sgpr_private_segment_size 0
		.amdhsa_wavefront_size32 1
		.amdhsa_uses_dynamic_stack 0
		.amdhsa_enable_private_segment 0
		.amdhsa_system_sgpr_workgroup_id_x 1
		.amdhsa_system_sgpr_workgroup_id_y 0
		.amdhsa_system_sgpr_workgroup_id_z 0
		.amdhsa_system_sgpr_workgroup_info 0
		.amdhsa_system_vgpr_workitem_id 0
		.amdhsa_next_free_vgpr 36
		.amdhsa_next_free_sgpr 16
		.amdhsa_reserve_vcc 1
		.amdhsa_float_round_mode_32 0
		.amdhsa_float_round_mode_16_64 0
		.amdhsa_float_denorm_mode_32 3
		.amdhsa_float_denorm_mode_16_64 3
		.amdhsa_fp16_overflow 0
		.amdhsa_workgroup_processor_mode 1
		.amdhsa_memory_ordered 1
		.amdhsa_forward_progress 1
		.amdhsa_inst_pref_size 19
		.amdhsa_round_robin_scheduling 0
		.amdhsa_exception_fp_ieee_invalid_op 0
		.amdhsa_exception_fp_denorm_src 0
		.amdhsa_exception_fp_ieee_div_zero 0
		.amdhsa_exception_fp_ieee_overflow 0
		.amdhsa_exception_fp_ieee_underflow 0
		.amdhsa_exception_fp_ieee_inexact 0
		.amdhsa_exception_int_div_zero 0
	.end_amdhsa_kernel
	.section	.text._Z30addBiasResidualPostLayerNormV2IfLi64EEvPT_PKS0_S3_S3_S3_fi,"axG",@progbits,_Z30addBiasResidualPostLayerNormV2IfLi64EEvPT_PKS0_S3_S3_S3_fi,comdat
.Lfunc_end0:
	.size	_Z30addBiasResidualPostLayerNormV2IfLi64EEvPT_PKS0_S3_S3_S3_fi, .Lfunc_end0-_Z30addBiasResidualPostLayerNormV2IfLi64EEvPT_PKS0_S3_S3_S3_fi
                                        ; -- End function
	.set _Z30addBiasResidualPostLayerNormV2IfLi64EEvPT_PKS0_S3_S3_S3_fi.num_vgpr, 36
	.set _Z30addBiasResidualPostLayerNormV2IfLi64EEvPT_PKS0_S3_S3_S3_fi.num_agpr, 0
	.set _Z30addBiasResidualPostLayerNormV2IfLi64EEvPT_PKS0_S3_S3_S3_fi.numbered_sgpr, 16
	.set _Z30addBiasResidualPostLayerNormV2IfLi64EEvPT_PKS0_S3_S3_S3_fi.num_named_barrier, 0
	.set _Z30addBiasResidualPostLayerNormV2IfLi64EEvPT_PKS0_S3_S3_S3_fi.private_seg_size, 0
	.set _Z30addBiasResidualPostLayerNormV2IfLi64EEvPT_PKS0_S3_S3_S3_fi.uses_vcc, 1
	.set _Z30addBiasResidualPostLayerNormV2IfLi64EEvPT_PKS0_S3_S3_S3_fi.uses_flat_scratch, 0
	.set _Z30addBiasResidualPostLayerNormV2IfLi64EEvPT_PKS0_S3_S3_S3_fi.has_dyn_sized_stack, 0
	.set _Z30addBiasResidualPostLayerNormV2IfLi64EEvPT_PKS0_S3_S3_S3_fi.has_recursion, 0
	.set _Z30addBiasResidualPostLayerNormV2IfLi64EEvPT_PKS0_S3_S3_S3_fi.has_indirect_call, 0
	.section	.AMDGPU.csdata,"",@progbits
; Kernel info:
; codeLenInByte = 2408
; TotalNumSgprs: 18
; NumVgprs: 36
; ScratchSize: 0
; MemoryBound: 0
; FloatMode: 240
; IeeeMode: 1
; LDSByteSize: 72 bytes/workgroup (compile time only)
; SGPRBlocks: 0
; VGPRBlocks: 4
; NumSGPRsForWavesPerEU: 18
; NumVGPRsForWavesPerEU: 36
; Occupancy: 16
; WaveLimiterHint : 0
; COMPUTE_PGM_RSRC2:SCRATCH_EN: 0
; COMPUTE_PGM_RSRC2:USER_SGPR: 2
; COMPUTE_PGM_RSRC2:TRAP_HANDLER: 0
; COMPUTE_PGM_RSRC2:TGID_X_EN: 1
; COMPUTE_PGM_RSRC2:TGID_Y_EN: 0
; COMPUTE_PGM_RSRC2:TGID_Z_EN: 0
; COMPUTE_PGM_RSRC2:TIDIG_COMP_CNT: 0
	.section	.text._Z30addBiasResidualPostLayerNormV2IfLi32EEvPT_PKS0_S3_S3_S3_fi,"axG",@progbits,_Z30addBiasResidualPostLayerNormV2IfLi32EEvPT_PKS0_S3_S3_S3_fi,comdat
	.protected	_Z30addBiasResidualPostLayerNormV2IfLi32EEvPT_PKS0_S3_S3_S3_fi ; -- Begin function _Z30addBiasResidualPostLayerNormV2IfLi32EEvPT_PKS0_S3_S3_S3_fi
	.globl	_Z30addBiasResidualPostLayerNormV2IfLi32EEvPT_PKS0_S3_S3_S3_fi
	.p2align	8
	.type	_Z30addBiasResidualPostLayerNormV2IfLi32EEvPT_PKS0_S3_S3_S3_fi,@function
_Z30addBiasResidualPostLayerNormV2IfLi32EEvPT_PKS0_S3_S3_S3_fi: ; @_Z30addBiasResidualPostLayerNormV2IfLi32EEvPT_PKS0_S3_S3_S3_fi
; %bb.0:
	s_clause 0x2
	s_load_b64 s[6:7], s[0:1], 0x28
	s_load_b32 s4, s[0:1], 0x3c
	s_load_b64 s[2:3], s[0:1], 0x10
	v_lshlrev_b32_e32 v4, 3, v0
	s_load_b128 s[8:11], s[0:1], 0x0
	s_wait_kmcnt 0x0
	s_mul_i32 s5, s7, ttmp9
	s_and_b32 s4, s4, 0xffff
	s_lshr_b32 s12, s5, 31
	global_load_b64 v[11:12], v4, s[2:3]
	s_add_co_i32 s5, s5, s12
	s_delay_alu instid0(SALU_CYCLE_1) | instskip(NEXT) | instid1(SALU_CYCLE_1)
	s_ashr_i32 s5, s5, 1
	v_add_nc_u32_e32 v1, s5, v0
	v_add_co_u32 v3, s5, s2, v4
	s_wait_alu 0xf1ff
	v_add_co_ci_u32_e64 v6, null, s3, 0, s5
	s_delay_alu instid0(VALU_DEP_3) | instskip(SKIP_4) | instid1(VALU_DEP_1)
	v_add_nc_u32_e32 v5, s4, v1
	s_lshl_b32 s5, s4, 3
	v_ashrrev_i32_e32 v2, 31, v1
	s_wait_alu 0xfffe
	v_add_co_u32 v7, vcc_lo, v3, s5
	v_add_co_ci_u32_e64 v8, null, 0, v6, vcc_lo
	v_ashrrev_i32_e32 v6, 31, v5
	v_lshlrev_b64_e32 v[13:14], 3, v[1:2]
	global_load_b64 v[15:16], v[7:8], off
	v_add_nc_u32_e32 v9, s4, v5
	v_lshlrev_b64_e32 v[5:6], 3, v[5:6]
	v_add_co_u32 v2, vcc_lo, s8, v13
	s_wait_alu 0xfffd
	v_add_co_ci_u32_e64 v3, null, s9, v14, vcc_lo
	v_add_co_u32 v13, vcc_lo, s10, v13
	v_ashrrev_i32_e32 v10, 31, v9
	s_wait_alu 0xfffd
	v_add_co_ci_u32_e64 v14, null, s11, v14, vcc_lo
	v_add_co_u32 v18, vcc_lo, s8, v5
	v_add_nc_u32_e32 v17, s4, v9
	s_wait_alu 0xfffd
	v_add_co_ci_u32_e64 v19, null, s9, v6, vcc_lo
	v_add_co_u32 v5, vcc_lo, s10, v5
	s_wait_alu 0xfffd
	v_add_co_ci_u32_e64 v6, null, s11, v6, vcc_lo
	v_lshlrev_b64_e32 v[9:10], 3, v[9:10]
	global_load_b64 v[20:21], v[2:3], off
	global_load_b64 v[13:14], v[13:14], off
	;; [unrolled: 1-line block ×4, first 2 shown]
	v_ashrrev_i32_e32 v18, 31, v17
	v_add_co_u32 v5, vcc_lo, s8, v9
	s_delay_alu instid0(VALU_DEP_2)
	v_lshlrev_b64_e32 v[17:18], 3, v[17:18]
	s_wait_alu 0xfffd
	v_add_co_ci_u32_e64 v6, null, s9, v10, vcc_lo
	v_add_co_u32 v9, vcc_lo, s10, v9
	s_wait_alu 0xfffd
	v_add_co_ci_u32_e64 v10, null, s11, v10, vcc_lo
	v_add_co_u32 v7, vcc_lo, v7, s5
	;; [unrolled: 3-line block ×4, first 2 shown]
	s_wait_alu 0xfffd
	v_add_co_ci_u32_e64 v18, null, s11, v18, vcc_lo
	global_load_b64 v[28:29], v[5:6], off
	global_load_b64 v[9:10], v[9:10], off
	;; [unrolled: 1-line block ×5, first 2 shown]
	v_add_co_u32 v5, vcc_lo, v7, s5
	s_wait_alu 0xfffd
	v_add_co_ci_u32_e64 v6, null, 0, v8, vcc_lo
	s_add_nc_u64 s[4:5], s[0:1], 48
	global_load_b64 v[32:33], v[5:6], off
	s_wait_loadcnt 0x8
	v_add_f32_e32 v5, v20, v13
	s_wait_loadcnt 0x6
	v_dual_add_f32 v7, v21, v14 :: v_dual_add_f32 v8, v22, v24
	s_delay_alu instid0(VALU_DEP_2) | instskip(NEXT) | instid1(VALU_DEP_2)
	v_add_f32_e32 v6, v5, v11
	v_add_f32_e32 v8, v8, v15
	s_wait_loadcnt 0x4
	v_dual_add_f32 v10, v29, v10 :: v_dual_add_f32 v9, v28, v9
	s_wait_loadcnt 0x3
	s_delay_alu instid0(VALU_DEP_1)
	v_add_f32_e32 v17, v10, v31
	s_wait_loadcnt 0x1
	v_add_f32_e32 v10, v27, v19
	v_add_f32_e32 v5, v7, v12
	;; [unrolled: 1-line block ×3, first 2 shown]
	s_wait_loadcnt 0x0
	s_delay_alu instid0(VALU_DEP_3) | instskip(NEXT) | instid1(VALU_DEP_2)
	v_dual_add_f32 v9, v9, v30 :: v_dual_add_f32 v10, v10, v33
	v_dual_add_f32 v12, 0, v5 :: v_dual_add_f32 v7, v7, v16
	v_add_f32_e32 v11, 0, v6
	v_mbcnt_lo_u32_b32 v16, -1, 0
	s_delay_alu instid0(VALU_DEP_3) | instskip(NEXT) | instid1(VALU_DEP_2)
	v_add_f32_e32 v12, v7, v12
	v_xor_b32_e32 v14, 16, v16
	v_xor_b32_e32 v20, 1, v16
	s_delay_alu instid0(VALU_DEP_3) | instskip(SKIP_1) | instid1(VALU_DEP_4)
	v_dual_add_f32 v13, v26, v18 :: v_dual_add_f32 v12, v17, v12
	v_add_f32_e32 v11, v8, v11
	v_cmp_gt_i32_e32 vcc_lo, 32, v14
	s_delay_alu instid0(VALU_DEP_2) | instskip(NEXT) | instid1(VALU_DEP_4)
	v_add_f32_e32 v15, v9, v11
	v_add_f32_e32 v11, v13, v32
	s_wait_alu 0xfffd
	v_dual_cndmask_b32 v13, v16, v14 :: v_dual_add_f32 v14, v10, v12
	s_delay_alu instid0(VALU_DEP_1) | instskip(SKIP_1) | instid1(VALU_DEP_2)
	v_dual_add_f32 v15, v11, v15 :: v_dual_lshlrev_b32 v12, 2, v13
	v_xor_b32_e32 v13, 8, v16
	v_add_f32_e32 v14, v15, v14
	s_delay_alu instid0(VALU_DEP_2)
	v_cmp_gt_i32_e32 vcc_lo, 32, v13
	ds_bpermute_b32 v15, v12, v14
	s_wait_dscnt 0x0
	v_add_f32_e32 v15, v14, v15
	s_wait_alu 0xfffd
	v_cndmask_b32_e32 v13, v16, v13, vcc_lo
	v_xor_b32_e32 v14, 4, v16
	s_delay_alu instid0(VALU_DEP_2) | instskip(NEXT) | instid1(VALU_DEP_2)
	v_lshlrev_b32_e32 v13, 2, v13
	v_cmp_gt_i32_e32 vcc_lo, 32, v14
	ds_bpermute_b32 v18, v13, v15
	s_wait_alu 0xfffd
	v_cndmask_b32_e32 v14, v16, v14, vcc_lo
	s_delay_alu instid0(VALU_DEP_1)
	v_lshlrev_b32_e32 v14, 2, v14
	s_wait_dscnt 0x0
	v_add_f32_e32 v18, v15, v18
	v_xor_b32_e32 v15, 2, v16
	ds_bpermute_b32 v19, v14, v18
	v_cmp_gt_i32_e32 vcc_lo, 32, v15
	s_wait_alu 0xfffd
	v_cndmask_b32_e32 v15, v16, v15, vcc_lo
	v_cmp_gt_i32_e32 vcc_lo, 32, v20
	s_wait_alu 0xfffd
	s_delay_alu instid0(VALU_DEP_2) | instskip(SKIP_1) | instid1(VALU_DEP_2)
	v_dual_cndmask_b32 v16, v16, v20 :: v_dual_lshlrev_b32 v15, 2, v15
	v_mov_b32_e32 v20, 0
	v_lshlrev_b32_e32 v16, 2, v16
	s_wait_dscnt 0x0
	v_add_f32_e32 v18, v18, v19
	ds_bpermute_b32 v19, v15, v18
	s_wait_dscnt 0x0
	v_add_f32_e32 v21, v18, v19
	v_and_b32_e32 v19, 31, v0
	v_lshrrev_b32_e32 v18, 3, v0
	ds_bpermute_b32 v22, v16, v21
	v_cmp_eq_u32_e64 s2, 0, v19
	s_and_saveexec_b32 s3, s2
	s_cbranch_execz .LBB1_2
; %bb.1:
	s_wait_dscnt 0x0
	v_add_f32_e32 v21, v21, v22
	ds_store_b32 v18, v21
.LBB1_2:
	s_wait_alu 0xfffe
	s_or_b32 exec_lo, exec_lo, s3
	s_wait_dscnt 0x0
	s_barrier_signal -1
	s_barrier_wait -1
	global_inv scope:SCOPE_SE
	s_load_b32 s5, s[4:5], 0xc
	v_lshlrev_b32_e32 v19, 2, v19
	s_wait_kmcnt 0x0
	s_bfe_u32 s3, s5, 0xb0005
	s_wait_alu 0xfffe
	v_cmp_gt_u32_e64 s3, s3, v0
	s_and_saveexec_b32 s4, s3
; %bb.3:
	ds_load_b32 v20, v19
; %bb.4:
	s_wait_alu 0xfffe
	s_or_b32 exec_lo, exec_lo, s4
	s_wait_dscnt 0x0
	ds_bpermute_b32 v21, v12, v20
	v_cmp_eq_u32_e64 s4, 0, v0
	s_cvt_f32_i32 s7, s7
	s_wait_dscnt 0x0
	v_add_f32_e32 v20, v20, v21
	ds_bpermute_b32 v21, v13, v20
	s_wait_dscnt 0x0
	v_add_f32_e32 v20, v20, v21
	ds_bpermute_b32 v21, v14, v20
	;; [unrolled: 3-line block ×4, first 2 shown]
	s_and_saveexec_b32 s10, s4
	s_cbranch_execz .LBB1_6
; %bb.5:
	s_wait_dscnt 0x0
	v_add_f32_e32 v0, v20, v21
	s_delay_alu instid0(VALU_DEP_1) | instskip(SKIP_1) | instid1(VALU_DEP_2)
	v_div_scale_f32 v20, null, s7, s7, v0
	v_div_scale_f32 v23, vcc_lo, v0, s7, v0
	v_rcp_f32_e32 v21, v20
	s_delay_alu instid0(TRANS32_DEP_1) | instskip(NEXT) | instid1(VALU_DEP_1)
	v_fma_f32 v22, -v20, v21, 1.0
	v_fmac_f32_e32 v21, v22, v21
	s_delay_alu instid0(VALU_DEP_1) | instskip(NEXT) | instid1(VALU_DEP_1)
	v_mul_f32_e32 v22, v23, v21
	v_fma_f32 v24, -v20, v22, v23
	s_delay_alu instid0(VALU_DEP_1) | instskip(NEXT) | instid1(VALU_DEP_1)
	v_fmac_f32_e32 v22, v24, v21
	v_fma_f32 v20, -v20, v22, v23
	s_wait_alu 0xfffd
	s_delay_alu instid0(VALU_DEP_1) | instskip(NEXT) | instid1(VALU_DEP_1)
	v_div_fmas_f32 v20, v20, v21, v22
	v_div_fixup_f32 v0, v20, s7, v0
	v_mov_b32_e32 v20, 0
	ds_store_b32 v20, v0 offset:132
.LBB1_6:
	s_wait_alu 0xfffe
	s_or_b32 exec_lo, exec_lo, s10
	v_mov_b32_e32 v20, 0
	s_wait_loadcnt_dscnt 0x0
	s_barrier_signal -1
	s_barrier_wait -1
	global_inv scope:SCOPE_SE
	ds_load_b32 v21, v20 offset:132
	s_wait_dscnt 0x0
	v_sub_f32_e32 v0, v5, v21
	v_sub_f32_e32 v5, v7, v21
	;; [unrolled: 1-line block ×6, first 2 shown]
	s_delay_alu instid0(VALU_DEP_2) | instskip(SKIP_1) | instid1(VALU_DEP_1)
	v_mul_f32_e32 v23, v8, v8
	v_mul_f32_e32 v17, v0, v0
	v_dual_fmac_f32 v17, v7, v7 :: v_dual_sub_f32 v10, v10, v21
	v_mul_f32_e32 v22, v5, v5
	v_sub_f32_e32 v9, v9, v21
	s_delay_alu instid0(VALU_DEP_3) | instskip(NEXT) | instid1(VALU_DEP_2)
	v_mul_f32_e32 v21, v10, v10
	v_dual_fmac_f32 v22, v6, v6 :: v_dual_fmac_f32 v23, v9, v9
	s_delay_alu instid0(VALU_DEP_2) | instskip(NEXT) | instid1(VALU_DEP_2)
	v_fmac_f32_e32 v21, v11, v11
	v_add_f32_e32 v17, v17, v22
	s_delay_alu instid0(VALU_DEP_1) | instskip(NEXT) | instid1(VALU_DEP_1)
	v_add_f32_e32 v17, v17, v23
	v_add_f32_e32 v17, v17, v21
	ds_bpermute_b32 v21, v12, v17
	s_wait_dscnt 0x0
	v_add_f32_e32 v17, v17, v21
	ds_bpermute_b32 v21, v13, v17
	s_wait_dscnt 0x0
	;; [unrolled: 3-line block ×4, first 2 shown]
	v_add_f32_e32 v17, v17, v21
	ds_bpermute_b32 v21, v16, v17
	s_and_saveexec_b32 s10, s2
	s_cbranch_execz .LBB1_8
; %bb.7:
	s_wait_dscnt 0x0
	v_add_f32_e32 v17, v17, v21
	ds_store_b32 v18, v17
.LBB1_8:
	s_wait_alu 0xfffe
	s_or_b32 exec_lo, exec_lo, s10
	s_load_b128 s[12:15], s[0:1], 0x18
	s_wait_loadcnt_dscnt 0x0
	s_barrier_signal -1
	s_barrier_wait -1
	global_inv scope:SCOPE_SE
	s_and_saveexec_b32 s0, s3
; %bb.9:
	ds_load_b32 v20, v19
; %bb.10:
	s_or_b32 exec_lo, exec_lo, s0
	s_wait_dscnt 0x0
	ds_bpermute_b32 v12, v12, v20
	s_wait_dscnt 0x0
	v_add_f32_e32 v12, v20, v12
	ds_bpermute_b32 v13, v13, v12
	s_wait_dscnt 0x0
	v_add_f32_e32 v12, v12, v13
	;; [unrolled: 3-line block ×4, first 2 shown]
	ds_bpermute_b32 v13, v16, v12
	s_and_saveexec_b32 s0, s4
	s_cbranch_execz .LBB1_12
; %bb.11:
	s_wait_dscnt 0x0
	v_add_f32_e32 v12, v12, v13
	s_delay_alu instid0(VALU_DEP_1) | instskip(SKIP_1) | instid1(VALU_DEP_2)
	v_div_scale_f32 v13, null, s7, s7, v12
	v_div_scale_f32 v16, vcc_lo, v12, s7, v12
	v_rcp_f32_e32 v14, v13
	s_delay_alu instid0(TRANS32_DEP_1) | instskip(NEXT) | instid1(VALU_DEP_1)
	v_fma_f32 v15, -v13, v14, 1.0
	v_fmac_f32_e32 v14, v15, v14
	s_delay_alu instid0(VALU_DEP_1) | instskip(NEXT) | instid1(VALU_DEP_1)
	v_mul_f32_e32 v15, v16, v14
	v_fma_f32 v17, -v13, v15, v16
	s_delay_alu instid0(VALU_DEP_1) | instskip(NEXT) | instid1(VALU_DEP_1)
	v_fmac_f32_e32 v15, v17, v14
	v_fma_f32 v13, -v13, v15, v16
	s_wait_alu 0xfffd
	s_delay_alu instid0(VALU_DEP_1) | instskip(NEXT) | instid1(VALU_DEP_1)
	v_div_fmas_f32 v13, v13, v14, v15
	v_div_fixup_f32 v12, v13, s7, v12
	s_delay_alu instid0(VALU_DEP_1) | instskip(NEXT) | instid1(VALU_DEP_1)
	v_add_f32_e32 v12, s6, v12
	v_mul_f32_e32 v13, 0x4b800000, v12
	v_cmp_gt_f32_e32 vcc_lo, 0x800000, v12
	s_wait_alu 0xfffd
	s_delay_alu instid0(VALU_DEP_2) | instskip(NEXT) | instid1(VALU_DEP_1)
	v_cndmask_b32_e32 v12, v12, v13, vcc_lo
	v_rsq_f32_e32 v12, v12
	s_delay_alu instid0(TRANS32_DEP_1) | instskip(NEXT) | instid1(VALU_DEP_1)
	v_mul_f32_e32 v13, 0x45800000, v12
	v_dual_cndmask_b32 v12, v12, v13 :: v_dual_mov_b32 v13, 0
	ds_store_b32 v13, v12 offset:128
.LBB1_12:
	s_or_b32 exec_lo, exec_lo, s0
	s_wait_kmcnt 0x0
	v_add_co_u32 v12, s1, s12, v4
	s_and_b32 s0, 0xffff, s5
	s_wait_dscnt 0x0
	v_add_co_ci_u32_e64 v13, null, s13, 0, s1
	v_add_co_u32 v20, s2, s14, v4
	s_lshl_b32 s1, s0, 3
	v_add_co_ci_u32_e64 v21, null, s15, 0, s2
	s_wait_alu 0xfffe
	v_add_co_u32 v12, vcc_lo, v12, s1
	s_wait_alu 0xfffd
	v_add_co_ci_u32_e64 v13, null, 0, v13, vcc_lo
	v_add_co_u32 v20, vcc_lo, v20, s1
	s_wait_alu 0xfffd
	v_add_co_ci_u32_e64 v21, null, 0, v21, vcc_lo
	s_wait_loadcnt 0x0
	s_barrier_signal -1
	s_barrier_wait -1
	global_inv scope:SCOPE_SE
	s_clause 0x1
	global_load_b64 v[14:15], v4, s[12:13]
	global_load_b64 v[16:17], v4, s[14:15]
	global_load_b64 v[18:19], v[12:13], off
	v_add_co_u32 v12, vcc_lo, v12, s1
	s_wait_alu 0xfffd
	v_add_co_ci_u32_e64 v13, null, 0, v13, vcc_lo
	v_add_co_u32 v22, vcc_lo, v20, s1
	s_wait_alu 0xfffd
	v_add_co_ci_u32_e64 v23, null, 0, v21, vcc_lo
	;; [unrolled: 3-line block ×4, first 2 shown]
	global_load_b64 v[20:21], v[20:21], off
	global_load_b64 v[12:13], v[12:13], off
	;; [unrolled: 1-line block ×5, first 2 shown]
	v_dual_mov_b32 v1, 0 :: v_dual_add_nc_u32 v28, s0, v1
	s_delay_alu instid0(VALU_DEP_1) | instskip(SKIP_3) | instid1(VALU_DEP_1)
	v_ashrrev_i32_e32 v29, 31, v28
	ds_load_b32 v1, v1 offset:128
	v_add_nc_u32_e32 v30, s0, v28
	v_lshlrev_b64_e32 v[28:29], 3, v[28:29]
	v_add_co_u32 v28, vcc_lo, s8, v28
	s_wait_alu 0xfffd
	s_delay_alu instid0(VALU_DEP_2)
	v_add_co_ci_u32_e64 v29, null, s9, v29, vcc_lo
	s_wait_dscnt 0x0
	v_dual_mul_f32 v5, v1, v5 :: v_dual_add_nc_u32 v32, s0, v30
	v_ashrrev_i32_e32 v31, 31, v30
	v_mul_f32_e32 v4, v1, v7
	v_mul_f32_e32 v7, v1, v9
	;; [unrolled: 1-line block ×3, first 2 shown]
	v_ashrrev_i32_e32 v33, 31, v32
	v_lshlrev_b64_e32 v[30:31], 3, v[30:31]
	v_mul_f32_e32 v6, v1, v6
	v_mul_f32_e32 v8, v1, v8
	;; [unrolled: 1-line block ×3, first 2 shown]
	v_lshlrev_b64_e32 v[32:33], 3, v[32:33]
	v_mul_f32_e32 v1, v1, v10
	v_add_co_u32 v30, vcc_lo, s8, v30
	s_wait_alu 0xfffd
	v_add_co_ci_u32_e64 v31, null, s9, v31, vcc_lo
	s_wait_loadcnt 0x6
	v_fma_f32 v17, v0, v15, v17
	v_fmac_f32_e32 v16, v4, v14
	v_add_co_u32 v0, vcc_lo, s8, v32
	s_wait_loadcnt 0x4
	v_fma_f32 v21, v5, v19, v21
	v_fmac_f32_e32 v20, v6, v18
	s_wait_loadcnt 0x2
	v_fma_f32 v23, v8, v13, v23
	v_fmac_f32_e32 v22, v7, v12
	s_wait_loadcnt 0x0
	v_fma_f32 v27, v1, v25, v27
	v_fmac_f32_e32 v26, v9, v24
	s_wait_alu 0xfffd
	v_add_co_ci_u32_e64 v1, null, s9, v33, vcc_lo
	s_clause 0x3
	global_store_b64 v[2:3], v[16:17], off
	global_store_b64 v[28:29], v[20:21], off
	;; [unrolled: 1-line block ×4, first 2 shown]
	s_endpgm
	.section	.rodata,"a",@progbits
	.p2align	6, 0x0
	.amdhsa_kernel _Z30addBiasResidualPostLayerNormV2IfLi32EEvPT_PKS0_S3_S3_S3_fi
		.amdhsa_group_segment_fixed_size 136
		.amdhsa_private_segment_fixed_size 0
		.amdhsa_kernarg_size 304
		.amdhsa_user_sgpr_count 2
		.amdhsa_user_sgpr_dispatch_ptr 0
		.amdhsa_user_sgpr_queue_ptr 0
		.amdhsa_user_sgpr_kernarg_segment_ptr 1
		.amdhsa_user_sgpr_dispatch_id 0
		.amdhsa_user_sgpr_private_segment_size 0
		.amdhsa_wavefront_size32 1
		.amdhsa_uses_dynamic_stack 0
		.amdhsa_enable_private_segment 0
		.amdhsa_system_sgpr_workgroup_id_x 1
		.amdhsa_system_sgpr_workgroup_id_y 0
		.amdhsa_system_sgpr_workgroup_id_z 0
		.amdhsa_system_sgpr_workgroup_info 0
		.amdhsa_system_vgpr_workitem_id 0
		.amdhsa_next_free_vgpr 34
		.amdhsa_next_free_sgpr 16
		.amdhsa_reserve_vcc 1
		.amdhsa_float_round_mode_32 0
		.amdhsa_float_round_mode_16_64 0
		.amdhsa_float_denorm_mode_32 3
		.amdhsa_float_denorm_mode_16_64 3
		.amdhsa_fp16_overflow 0
		.amdhsa_workgroup_processor_mode 1
		.amdhsa_memory_ordered 1
		.amdhsa_forward_progress 1
		.amdhsa_inst_pref_size 19
		.amdhsa_round_robin_scheduling 0
		.amdhsa_exception_fp_ieee_invalid_op 0
		.amdhsa_exception_fp_denorm_src 0
		.amdhsa_exception_fp_ieee_div_zero 0
		.amdhsa_exception_fp_ieee_overflow 0
		.amdhsa_exception_fp_ieee_underflow 0
		.amdhsa_exception_fp_ieee_inexact 0
		.amdhsa_exception_int_div_zero 0
	.end_amdhsa_kernel
	.section	.text._Z30addBiasResidualPostLayerNormV2IfLi32EEvPT_PKS0_S3_S3_S3_fi,"axG",@progbits,_Z30addBiasResidualPostLayerNormV2IfLi32EEvPT_PKS0_S3_S3_S3_fi,comdat
.Lfunc_end1:
	.size	_Z30addBiasResidualPostLayerNormV2IfLi32EEvPT_PKS0_S3_S3_S3_fi, .Lfunc_end1-_Z30addBiasResidualPostLayerNormV2IfLi32EEvPT_PKS0_S3_S3_S3_fi
                                        ; -- End function
	.set _Z30addBiasResidualPostLayerNormV2IfLi32EEvPT_PKS0_S3_S3_S3_fi.num_vgpr, 34
	.set _Z30addBiasResidualPostLayerNormV2IfLi32EEvPT_PKS0_S3_S3_S3_fi.num_agpr, 0
	.set _Z30addBiasResidualPostLayerNormV2IfLi32EEvPT_PKS0_S3_S3_S3_fi.numbered_sgpr, 16
	.set _Z30addBiasResidualPostLayerNormV2IfLi32EEvPT_PKS0_S3_S3_S3_fi.num_named_barrier, 0
	.set _Z30addBiasResidualPostLayerNormV2IfLi32EEvPT_PKS0_S3_S3_S3_fi.private_seg_size, 0
	.set _Z30addBiasResidualPostLayerNormV2IfLi32EEvPT_PKS0_S3_S3_S3_fi.uses_vcc, 1
	.set _Z30addBiasResidualPostLayerNormV2IfLi32EEvPT_PKS0_S3_S3_S3_fi.uses_flat_scratch, 0
	.set _Z30addBiasResidualPostLayerNormV2IfLi32EEvPT_PKS0_S3_S3_S3_fi.has_dyn_sized_stack, 0
	.set _Z30addBiasResidualPostLayerNormV2IfLi32EEvPT_PKS0_S3_S3_S3_fi.has_recursion, 0
	.set _Z30addBiasResidualPostLayerNormV2IfLi32EEvPT_PKS0_S3_S3_S3_fi.has_indirect_call, 0
	.section	.AMDGPU.csdata,"",@progbits
; Kernel info:
; codeLenInByte = 2336
; TotalNumSgprs: 18
; NumVgprs: 34
; ScratchSize: 0
; MemoryBound: 0
; FloatMode: 240
; IeeeMode: 1
; LDSByteSize: 136 bytes/workgroup (compile time only)
; SGPRBlocks: 0
; VGPRBlocks: 4
; NumSGPRsForWavesPerEU: 18
; NumVGPRsForWavesPerEU: 34
; Occupancy: 16
; WaveLimiterHint : 0
; COMPUTE_PGM_RSRC2:SCRATCH_EN: 0
; COMPUTE_PGM_RSRC2:USER_SGPR: 2
; COMPUTE_PGM_RSRC2:TRAP_HANDLER: 0
; COMPUTE_PGM_RSRC2:TGID_X_EN: 1
; COMPUTE_PGM_RSRC2:TGID_Y_EN: 0
; COMPUTE_PGM_RSRC2:TGID_Z_EN: 0
; COMPUTE_PGM_RSRC2:TIDIG_COMP_CNT: 0
	.section	.text._Z28addBiasResidualPostLayerNormIfLi1ELi64EEvPT_PKS0_S3_S3_S3_fi,"axG",@progbits,_Z28addBiasResidualPostLayerNormIfLi1ELi64EEvPT_PKS0_S3_S3_S3_fi,comdat
	.protected	_Z28addBiasResidualPostLayerNormIfLi1ELi64EEvPT_PKS0_S3_S3_S3_fi ; -- Begin function _Z28addBiasResidualPostLayerNormIfLi1ELi64EEvPT_PKS0_S3_S3_S3_fi
	.globl	_Z28addBiasResidualPostLayerNormIfLi1ELi64EEvPT_PKS0_S3_S3_S3_fi
	.p2align	8
	.type	_Z28addBiasResidualPostLayerNormIfLi1ELi64EEvPT_PKS0_S3_S3_S3_fi,@function
_Z28addBiasResidualPostLayerNormIfLi1ELi64EEvPT_PKS0_S3_S3_S3_fi: ; @_Z28addBiasResidualPostLayerNormIfLi1ELi64EEvPT_PKS0_S3_S3_S3_fi
; %bb.0:
	s_clause 0x1
	s_load_b64 s[8:9], s[0:1], 0x28
	s_load_b64 s[6:7], s[0:1], 0x0
	v_mov_b32_e32 v5, 0
	v_lshlrev_b32_e32 v1, 2, v0
                                        ; implicit-def: $vgpr2
	s_wait_kmcnt 0x0
	v_cmp_gt_i32_e64 s2, s9, v0
	s_and_saveexec_b32 s3, s2
	s_cbranch_execz .LBB2_2
; %bb.1:
	s_load_b128 s[12:15], s[0:1], 0x8
	v_mad_co_u64_u32 v[2:3], null, s9, ttmp9, v[0:1]
	v_mov_b32_e32 v3, 0
	s_delay_alu instid0(VALU_DEP_1) | instskip(NEXT) | instid1(VALU_DEP_1)
	v_lshlrev_b64_e32 v[2:3], 2, v[2:3]
	v_add_co_u32 v4, vcc_lo, s6, v2
	s_delay_alu instid0(VALU_DEP_1)
	v_add_co_ci_u32_e64 v5, null, s7, v3, vcc_lo
	s_wait_kmcnt 0x0
	v_add_co_u32 v2, vcc_lo, s12, v2
	s_wait_alu 0xfffd
	v_add_co_ci_u32_e64 v3, null, s13, v3, vcc_lo
	global_load_b32 v4, v[4:5], off
	global_load_b32 v2, v[2:3], off
	global_load_b32 v3, v1, s[14:15]
	s_wait_loadcnt 0x1
	v_add_f32_e32 v2, v4, v2
	s_wait_loadcnt 0x0
	s_delay_alu instid0(VALU_DEP_1) | instskip(NEXT) | instid1(VALU_DEP_1)
	v_add_f32_e32 v2, v2, v3
	v_add_f32_e32 v5, 0, v2
.LBB2_2:
	s_or_b32 exec_lo, exec_lo, s3
	v_mbcnt_lo_u32_b32 v8, -1, 0
	s_delay_alu instid0(VALU_DEP_1) | instskip(SKIP_2) | instid1(VALU_DEP_3)
	v_or_b32_e32 v3, 32, v8
	v_xor_b32_e32 v4, 16, v8
	v_xor_b32_e32 v11, 1, v8
	v_cmp_gt_i32_e32 vcc_lo, 64, v3
	s_wait_alu 0xfffd
	v_cndmask_b32_e32 v3, v8, v3, vcc_lo
	v_cmp_gt_i32_e32 vcc_lo, 64, v4
	s_wait_alu 0xfffd
	v_cndmask_b32_e32 v4, v8, v4, vcc_lo
	s_delay_alu instid0(VALU_DEP_1)
	v_lshlrev_b32_e32 v4, 2, v4
	v_lshlrev_b32_e32 v3, 2, v3
	ds_bpermute_b32 v6, v3, v5
	s_wait_dscnt 0x0
	v_add_f32_e32 v6, v5, v6
	v_xor_b32_e32 v5, 8, v8
	ds_bpermute_b32 v7, v4, v6
	v_cmp_gt_i32_e32 vcc_lo, 64, v5
	s_wait_alu 0xfffd
	v_cndmask_b32_e32 v5, v8, v5, vcc_lo
	s_wait_dscnt 0x0
	v_add_f32_e32 v7, v6, v7
	v_xor_b32_e32 v6, 4, v8
	s_delay_alu instid0(VALU_DEP_1) | instskip(SKIP_2) | instid1(VALU_DEP_1)
	v_cmp_gt_i32_e32 vcc_lo, 64, v6
	s_wait_alu 0xfffd
	v_cndmask_b32_e32 v6, v8, v6, vcc_lo
	v_lshlrev_b32_e32 v6, 2, v6
	v_lshlrev_b32_e32 v5, 2, v5
	ds_bpermute_b32 v9, v5, v7
	s_wait_dscnt 0x0
	v_add_f32_e32 v9, v7, v9
	v_xor_b32_e32 v7, 2, v8
	s_delay_alu instid0(VALU_DEP_1)
	v_cmp_gt_i32_e32 vcc_lo, 64, v7
	s_wait_alu 0xfffd
	v_cndmask_b32_e32 v7, v8, v7, vcc_lo
	v_cmp_gt_i32_e32 vcc_lo, 64, v11
	s_wait_alu 0xfffd
	v_cndmask_b32_e32 v8, v8, v11, vcc_lo
	ds_bpermute_b32 v10, v6, v9
	v_lshlrev_b32_e32 v8, 2, v8
	v_lshlrev_b32_e32 v7, 2, v7
	s_wait_dscnt 0x0
	v_add_f32_e32 v9, v9, v10
	ds_bpermute_b32 v10, v7, v9
	s_wait_dscnt 0x0
	v_dual_add_f32 v11, v9, v10 :: v_dual_and_b32 v10, 63, v0
	v_lshrrev_b32_e32 v9, 4, v0
	ds_bpermute_b32 v12, v8, v11
	v_cmp_eq_u32_e64 s3, 0, v10
	s_and_saveexec_b32 s4, s3
	s_cbranch_execz .LBB2_4
; %bb.3:
	s_wait_dscnt 0x0
	v_add_f32_e32 v11, v11, v12
	ds_store_b32 v9, v11
.LBB2_4:
	s_or_b32 exec_lo, exec_lo, s4
	s_wait_dscnt 0x0
	s_barrier_signal -1
	s_barrier_wait -1
	global_inv scope:SCOPE_SE
	s_load_b32 s4, s[0:1], 0x3c
	v_dual_mov_b32 v11, 0 :: v_dual_lshlrev_b32 v10, 2, v10
	s_wait_kmcnt 0x0
	s_bfe_u32 s4, s4, 0xa0006
	s_delay_alu instid0(SALU_CYCLE_1)
	v_cmp_gt_u32_e64 s4, s4, v0
	s_and_saveexec_b32 s5, s4
; %bb.5:
	ds_load_b32 v11, v10
; %bb.6:
	s_wait_alu 0xfffe
	s_or_b32 exec_lo, exec_lo, s5
	s_wait_dscnt 0x0
	ds_bpermute_b32 v12, v3, v11
	v_cmp_eq_u32_e64 s5, 0, v0
	s_cvt_f32_i32 s10, s9
	s_wait_dscnt 0x0
	v_add_f32_e32 v11, v11, v12
	ds_bpermute_b32 v12, v4, v11
	s_wait_dscnt 0x0
	v_add_f32_e32 v11, v11, v12
	ds_bpermute_b32 v12, v5, v11
	;; [unrolled: 3-line block ×5, first 2 shown]
	s_and_saveexec_b32 s11, s5
	s_cbranch_execz .LBB2_8
; %bb.7:
	s_wait_dscnt 0x0
	v_add_f32_e32 v11, v11, v12
	s_delay_alu instid0(VALU_DEP_1) | instskip(SKIP_1) | instid1(VALU_DEP_2)
	v_div_scale_f32 v12, null, s10, s10, v11
	v_div_scale_f32 v15, vcc_lo, v11, s10, v11
	v_rcp_f32_e32 v13, v12
	s_delay_alu instid0(TRANS32_DEP_1) | instskip(NEXT) | instid1(VALU_DEP_1)
	v_fma_f32 v14, -v12, v13, 1.0
	v_fmac_f32_e32 v13, v14, v13
	s_delay_alu instid0(VALU_DEP_1) | instskip(NEXT) | instid1(VALU_DEP_1)
	v_mul_f32_e32 v14, v15, v13
	v_fma_f32 v16, -v12, v14, v15
	s_delay_alu instid0(VALU_DEP_1) | instskip(NEXT) | instid1(VALU_DEP_1)
	v_fmac_f32_e32 v14, v16, v13
	v_fma_f32 v12, -v12, v14, v15
	s_wait_alu 0xfffd
	s_delay_alu instid0(VALU_DEP_1) | instskip(NEXT) | instid1(VALU_DEP_1)
	v_div_fmas_f32 v12, v12, v13, v14
	v_div_fixup_f32 v11, v12, s10, v11
	v_mov_b32_e32 v12, 0
	ds_store_b32 v12, v11 offset:68
.LBB2_8:
	s_or_b32 exec_lo, exec_lo, s11
	v_mov_b32_e32 v11, 0
	s_wait_loadcnt_dscnt 0x0
	s_barrier_signal -1
	s_barrier_wait -1
	global_inv scope:SCOPE_SE
	ds_load_b32 v12, v11 offset:68
	s_wait_dscnt 0x0
	v_sub_f32_e32 v12, v2, v12
	s_delay_alu instid0(VALU_DEP_1) | instskip(NEXT) | instid1(VALU_DEP_1)
	v_mul_f32_e32 v12, v12, v12
	v_cndmask_b32_e64 v12, 0, v12, s2
	ds_bpermute_b32 v13, v3, v12
	s_wait_dscnt 0x0
	v_add_f32_e32 v12, v12, v13
	ds_bpermute_b32 v13, v4, v12
	s_wait_dscnt 0x0
	v_add_f32_e32 v12, v12, v13
	;; [unrolled: 3-line block ×5, first 2 shown]
	ds_bpermute_b32 v13, v8, v12
	s_and_saveexec_b32 s11, s3
	s_cbranch_execz .LBB2_10
; %bb.9:
	s_wait_dscnt 0x0
	v_add_f32_e32 v12, v12, v13
	ds_store_b32 v9, v12
.LBB2_10:
	s_wait_alu 0xfffe
	s_or_b32 exec_lo, exec_lo, s11
	s_wait_loadcnt_dscnt 0x0
	s_barrier_signal -1
	s_barrier_wait -1
	global_inv scope:SCOPE_SE
	s_and_saveexec_b32 s3, s4
; %bb.11:
	ds_load_b32 v11, v10
; %bb.12:
	s_wait_alu 0xfffe
	s_or_b32 exec_lo, exec_lo, s3
	s_wait_dscnt 0x0
	ds_bpermute_b32 v3, v3, v11
	s_wait_dscnt 0x0
	v_add_f32_e32 v3, v11, v3
	ds_bpermute_b32 v4, v4, v3
	s_wait_dscnt 0x0
	v_add_f32_e32 v3, v3, v4
	;; [unrolled: 3-line block ×5, first 2 shown]
	ds_bpermute_b32 v4, v8, v3
	s_and_saveexec_b32 s3, s5
	s_cbranch_execz .LBB2_14
; %bb.13:
	s_wait_dscnt 0x0
	v_add_f32_e32 v3, v3, v4
	s_delay_alu instid0(VALU_DEP_1) | instskip(SKIP_1) | instid1(VALU_DEP_2)
	v_div_scale_f32 v4, null, s10, s10, v3
	v_div_scale_f32 v7, vcc_lo, v3, s10, v3
	v_rcp_f32_e32 v5, v4
	s_delay_alu instid0(TRANS32_DEP_1) | instskip(NEXT) | instid1(VALU_DEP_1)
	v_fma_f32 v6, -v4, v5, 1.0
	v_fmac_f32_e32 v5, v6, v5
	s_delay_alu instid0(VALU_DEP_1) | instskip(NEXT) | instid1(VALU_DEP_1)
	v_mul_f32_e32 v6, v7, v5
	v_fma_f32 v8, -v4, v6, v7
	s_delay_alu instid0(VALU_DEP_1) | instskip(NEXT) | instid1(VALU_DEP_1)
	v_fmac_f32_e32 v6, v8, v5
	v_fma_f32 v4, -v4, v6, v7
	s_wait_alu 0xfffd
	s_delay_alu instid0(VALU_DEP_1) | instskip(NEXT) | instid1(VALU_DEP_1)
	v_div_fmas_f32 v4, v4, v5, v6
	v_div_fixup_f32 v3, v4, s10, v3
	s_delay_alu instid0(VALU_DEP_1)
	v_dual_mov_b32 v4, 0 :: v_dual_add_f32 v3, s8, v3
	ds_store_b32 v4, v3 offset:64
.LBB2_14:
	s_wait_alu 0xfffe
	s_or_b32 exec_lo, exec_lo, s3
	s_wait_loadcnt_dscnt 0x0
	s_barrier_signal -1
	s_barrier_wait -1
	global_inv scope:SCOPE_SE
	s_and_saveexec_b32 s3, s2
	s_cbranch_execz .LBB2_16
; %bb.15:
	s_load_b128 s[0:3], s[0:1], 0x18
	v_mov_b32_e32 v7, 0
	s_wait_kmcnt 0x0
	s_clause 0x1
	global_load_b32 v5, v1, s[0:1]
	global_load_b32 v6, v1, s[2:3]
	ds_load_b64 v[3:4], v7 offset:64
	v_mad_co_u64_u32 v[0:1], null, s9, ttmp9, v[0:1]
	s_wait_dscnt 0x0
	v_readfirstlane_b32 s0, v3
	v_sub_f32_e32 v2, v2, v4
	s_cmp_lt_f32 s0, 0x800000
	s_mul_f32 s1, s0, 0x4b800000
	s_wait_alu 0xfffe
	s_delay_alu instid0(SALU_CYCLE_2) | instskip(SKIP_2) | instid1(TRANS32_DEP_1)
	s_cselect_b32 s0, s1, s0
	s_wait_alu 0xfffe
	v_s_rsq_f32 s0, s0
	s_mul_f32 s1, s0, 0x45800000
	s_wait_alu 0xfffe
	s_delay_alu instid0(SALU_CYCLE_2) | instskip(SKIP_2) | instid1(VALU_DEP_1)
	s_cselect_b32 s0, s1, s0
	s_wait_alu 0xfffe
	v_dual_mov_b32 v1, v7 :: v_dual_mul_f32 v2, s0, v2
	v_lshlrev_b64_e32 v[0:1], 2, v[0:1]
	s_delay_alu instid0(VALU_DEP_1) | instskip(SKIP_1) | instid1(VALU_DEP_2)
	v_add_co_u32 v0, vcc_lo, s6, v0
	s_wait_alu 0xfffd
	v_add_co_ci_u32_e64 v1, null, s7, v1, vcc_lo
	s_wait_loadcnt 0x0
	v_fmac_f32_e32 v6, v5, v2
	global_store_b32 v[0:1], v6, off
.LBB2_16:
	s_endpgm
	.section	.rodata,"a",@progbits
	.p2align	6, 0x0
	.amdhsa_kernel _Z28addBiasResidualPostLayerNormIfLi1ELi64EEvPT_PKS0_S3_S3_S3_fi
		.amdhsa_group_segment_fixed_size 72
		.amdhsa_private_segment_fixed_size 0
		.amdhsa_kernarg_size 304
		.amdhsa_user_sgpr_count 2
		.amdhsa_user_sgpr_dispatch_ptr 0
		.amdhsa_user_sgpr_queue_ptr 0
		.amdhsa_user_sgpr_kernarg_segment_ptr 1
		.amdhsa_user_sgpr_dispatch_id 0
		.amdhsa_user_sgpr_private_segment_size 0
		.amdhsa_wavefront_size32 1
		.amdhsa_uses_dynamic_stack 0
		.amdhsa_enable_private_segment 0
		.amdhsa_system_sgpr_workgroup_id_x 1
		.amdhsa_system_sgpr_workgroup_id_y 0
		.amdhsa_system_sgpr_workgroup_id_z 0
		.amdhsa_system_sgpr_workgroup_info 0
		.amdhsa_system_vgpr_workitem_id 0
		.amdhsa_next_free_vgpr 17
		.amdhsa_next_free_sgpr 16
		.amdhsa_reserve_vcc 1
		.amdhsa_float_round_mode_32 0
		.amdhsa_float_round_mode_16_64 0
		.amdhsa_float_denorm_mode_32 3
		.amdhsa_float_denorm_mode_16_64 3
		.amdhsa_fp16_overflow 0
		.amdhsa_workgroup_processor_mode 1
		.amdhsa_memory_ordered 1
		.amdhsa_forward_progress 1
		.amdhsa_inst_pref_size 12
		.amdhsa_round_robin_scheduling 0
		.amdhsa_exception_fp_ieee_invalid_op 0
		.amdhsa_exception_fp_denorm_src 0
		.amdhsa_exception_fp_ieee_div_zero 0
		.amdhsa_exception_fp_ieee_overflow 0
		.amdhsa_exception_fp_ieee_underflow 0
		.amdhsa_exception_fp_ieee_inexact 0
		.amdhsa_exception_int_div_zero 0
	.end_amdhsa_kernel
	.section	.text._Z28addBiasResidualPostLayerNormIfLi1ELi64EEvPT_PKS0_S3_S3_S3_fi,"axG",@progbits,_Z28addBiasResidualPostLayerNormIfLi1ELi64EEvPT_PKS0_S3_S3_S3_fi,comdat
.Lfunc_end2:
	.size	_Z28addBiasResidualPostLayerNormIfLi1ELi64EEvPT_PKS0_S3_S3_S3_fi, .Lfunc_end2-_Z28addBiasResidualPostLayerNormIfLi1ELi64EEvPT_PKS0_S3_S3_S3_fi
                                        ; -- End function
	.set _Z28addBiasResidualPostLayerNormIfLi1ELi64EEvPT_PKS0_S3_S3_S3_fi.num_vgpr, 17
	.set _Z28addBiasResidualPostLayerNormIfLi1ELi64EEvPT_PKS0_S3_S3_S3_fi.num_agpr, 0
	.set _Z28addBiasResidualPostLayerNormIfLi1ELi64EEvPT_PKS0_S3_S3_S3_fi.numbered_sgpr, 16
	.set _Z28addBiasResidualPostLayerNormIfLi1ELi64EEvPT_PKS0_S3_S3_S3_fi.num_named_barrier, 0
	.set _Z28addBiasResidualPostLayerNormIfLi1ELi64EEvPT_PKS0_S3_S3_S3_fi.private_seg_size, 0
	.set _Z28addBiasResidualPostLayerNormIfLi1ELi64EEvPT_PKS0_S3_S3_S3_fi.uses_vcc, 1
	.set _Z28addBiasResidualPostLayerNormIfLi1ELi64EEvPT_PKS0_S3_S3_S3_fi.uses_flat_scratch, 0
	.set _Z28addBiasResidualPostLayerNormIfLi1ELi64EEvPT_PKS0_S3_S3_S3_fi.has_dyn_sized_stack, 0
	.set _Z28addBiasResidualPostLayerNormIfLi1ELi64EEvPT_PKS0_S3_S3_S3_fi.has_recursion, 0
	.set _Z28addBiasResidualPostLayerNormIfLi1ELi64EEvPT_PKS0_S3_S3_S3_fi.has_indirect_call, 0
	.section	.AMDGPU.csdata,"",@progbits
; Kernel info:
; codeLenInByte = 1460
; TotalNumSgprs: 18
; NumVgprs: 17
; ScratchSize: 0
; MemoryBound: 0
; FloatMode: 240
; IeeeMode: 1
; LDSByteSize: 72 bytes/workgroup (compile time only)
; SGPRBlocks: 0
; VGPRBlocks: 2
; NumSGPRsForWavesPerEU: 18
; NumVGPRsForWavesPerEU: 17
; Occupancy: 16
; WaveLimiterHint : 0
; COMPUTE_PGM_RSRC2:SCRATCH_EN: 0
; COMPUTE_PGM_RSRC2:USER_SGPR: 2
; COMPUTE_PGM_RSRC2:TRAP_HANDLER: 0
; COMPUTE_PGM_RSRC2:TGID_X_EN: 1
; COMPUTE_PGM_RSRC2:TGID_Y_EN: 0
; COMPUTE_PGM_RSRC2:TGID_Z_EN: 0
; COMPUTE_PGM_RSRC2:TIDIG_COMP_CNT: 0
	.section	.text._Z28addBiasResidualPostLayerNormIfLi2ELi64EEvPT_PKS0_S3_S3_S3_fi,"axG",@progbits,_Z28addBiasResidualPostLayerNormIfLi2ELi64EEvPT_PKS0_S3_S3_S3_fi,comdat
	.protected	_Z28addBiasResidualPostLayerNormIfLi2ELi64EEvPT_PKS0_S3_S3_S3_fi ; -- Begin function _Z28addBiasResidualPostLayerNormIfLi2ELi64EEvPT_PKS0_S3_S3_S3_fi
	.globl	_Z28addBiasResidualPostLayerNormIfLi2ELi64EEvPT_PKS0_S3_S3_S3_fi
	.p2align	8
	.type	_Z28addBiasResidualPostLayerNormIfLi2ELi64EEvPT_PKS0_S3_S3_S3_fi,@function
_Z28addBiasResidualPostLayerNormIfLi2ELi64EEvPT_PKS0_S3_S3_S3_fi: ; @_Z28addBiasResidualPostLayerNormIfLi2ELi64EEvPT_PKS0_S3_S3_S3_fi
; %bb.0:
	s_clause 0x1
	s_load_b64 s[10:11], s[0:1], 0x28
	s_load_b64 s[8:9], s[0:1], 0x0
	v_dual_mov_b32 v6, 0 :: v_dual_mov_b32 v3, 0
	s_delay_alu instid0(VALU_DEP_1)
	v_dual_mov_b32 v2, v6 :: v_dual_lshlrev_b32 v7, 2, v0
	s_wait_kmcnt 0x0
	s_mul_i32 s12, s11, ttmp9
	v_cmp_gt_i32_e64 s2, s11, v0
	v_add_nc_u32_e32 v1, s12, v0
	s_and_saveexec_b32 s3, s2
	s_cbranch_execz .LBB3_4
; %bb.1:
	s_clause 0x1
	s_load_b128 s[4:7], s[0:1], 0x8
	s_load_b32 s13, s[0:1], 0x3c
	v_mov_b32_e32 v2, 0
	s_delay_alu instid0(VALU_DEP_1) | instskip(NEXT) | instid1(VALU_DEP_1)
	v_lshlrev_b64_e32 v[3:4], 2, v[1:2]
	v_add_co_u32 v5, vcc_lo, s8, v3
	s_delay_alu instid0(VALU_DEP_1)
	v_add_co_ci_u32_e64 v6, null, s9, v4, vcc_lo
	s_wait_kmcnt 0x0
	v_add_co_u32 v3, vcc_lo, s4, v3
	s_wait_alu 0xfffd
	v_add_co_ci_u32_e64 v4, null, s5, v4, vcc_lo
	s_and_b32 s14, s13, 0xffff
	s_mov_b32 s13, exec_lo
	global_load_b32 v5, v[5:6], off
	global_load_b32 v3, v[3:4], off
	global_load_b32 v4, v7, s[6:7]
	s_wait_loadcnt 0x1
	v_add_f32_e32 v3, v5, v3
	s_wait_loadcnt 0x0
	s_delay_alu instid0(VALU_DEP_1) | instskip(SKIP_1) | instid1(VALU_DEP_2)
	v_add_f32_e32 v3, v3, v4
	v_add_nc_u32_e32 v4, s14, v0
	v_add_f32_e32 v6, 0, v3
	s_delay_alu instid0(VALU_DEP_2)
	v_cmpx_gt_u32_e64 s11, v4
	s_cbranch_execz .LBB3_3
; %bb.2:
	v_dual_mov_b32 v5, 0 :: v_dual_add_nc_u32 v4, s12, v4
	s_delay_alu instid0(VALU_DEP_1) | instskip(NEXT) | instid1(VALU_DEP_1)
	v_lshlrev_b64_e32 v[4:5], 2, v[4:5]
	v_add_co_u32 v8, vcc_lo, s8, v4
	s_wait_alu 0xfffd
	s_delay_alu instid0(VALU_DEP_2)
	v_add_co_ci_u32_e64 v9, null, s9, v5, vcc_lo
	v_add_co_u32 v4, vcc_lo, s4, v4
	v_add_co_u32 v2, s4, s6, v7
	s_wait_alu 0xfffd
	v_add_co_ci_u32_e64 v5, null, s5, v5, vcc_lo
	s_wait_alu 0xf1ff
	v_add_co_ci_u32_e64 v10, null, s7, 0, s4
	s_lshl_b32 s4, s14, 2
	global_load_b32 v8, v[8:9], off
	global_load_b32 v9, v[4:5], off
	s_wait_alu 0xfffe
	v_add_co_u32 v4, vcc_lo, v2, s4
	s_wait_alu 0xfffd
	v_add_co_ci_u32_e64 v5, null, 0, v10, vcc_lo
	global_load_b32 v2, v[4:5], off
	s_wait_loadcnt 0x1
	v_add_f32_e32 v4, v8, v9
	s_wait_loadcnt 0x0
	s_delay_alu instid0(VALU_DEP_1) | instskip(NEXT) | instid1(VALU_DEP_1)
	v_add_f32_e32 v2, v4, v2
	v_add_f32_e32 v6, v6, v2
.LBB3_3:
	s_wait_alu 0xfffe
	s_or_b32 exec_lo, exec_lo, s13
.LBB3_4:
	s_delay_alu instid0(SALU_CYCLE_1) | instskip(SKIP_1) | instid1(VALU_DEP_1)
	s_or_b32 exec_lo, exec_lo, s3
	v_mbcnt_lo_u32_b32 v10, -1, 0
	v_or_b32_e32 v4, 32, v10
	v_xor_b32_e32 v5, 16, v10
	v_xor_b32_e32 v13, 1, v10
	s_delay_alu instid0(VALU_DEP_3)
	v_cmp_gt_i32_e32 vcc_lo, 64, v4
	s_wait_alu 0xfffd
	v_cndmask_b32_e32 v4, v10, v4, vcc_lo
	v_cmp_gt_i32_e32 vcc_lo, 64, v5
	s_wait_alu 0xfffd
	v_cndmask_b32_e32 v5, v10, v5, vcc_lo
	s_delay_alu instid0(VALU_DEP_1)
	v_lshlrev_b32_e32 v5, 2, v5
	v_lshlrev_b32_e32 v4, 2, v4
	ds_bpermute_b32 v8, v4, v6
	s_wait_dscnt 0x0
	v_add_f32_e32 v8, v6, v8
	v_xor_b32_e32 v6, 8, v10
	ds_bpermute_b32 v9, v5, v8
	v_cmp_gt_i32_e32 vcc_lo, 64, v6
	s_wait_alu 0xfffd
	v_cndmask_b32_e32 v6, v10, v6, vcc_lo
	s_wait_dscnt 0x0
	s_delay_alu instid0(VALU_DEP_1)
	v_dual_add_f32 v9, v8, v9 :: v_dual_lshlrev_b32 v6, 2, v6
	v_xor_b32_e32 v8, 4, v10
	ds_bpermute_b32 v11, v6, v9
	v_cmp_gt_i32_e32 vcc_lo, 64, v8
	s_wait_dscnt 0x0
	s_wait_alu 0xfffd
	v_dual_cndmask_b32 v8, v10, v8 :: v_dual_add_f32 v11, v9, v11
	v_xor_b32_e32 v9, 2, v10
	s_delay_alu instid0(VALU_DEP_1) | instskip(SKIP_1) | instid1(VALU_DEP_3)
	v_cmp_gt_i32_e32 vcc_lo, 64, v9
	s_wait_alu 0xfffd
	v_dual_cndmask_b32 v9, v10, v9 :: v_dual_lshlrev_b32 v8, 2, v8
	ds_bpermute_b32 v12, v8, v11
	v_cmp_gt_i32_e32 vcc_lo, 64, v13
	v_lshlrev_b32_e32 v9, 2, v9
	s_wait_alu 0xfffd
	v_cndmask_b32_e32 v10, v10, v13, vcc_lo
	s_wait_dscnt 0x0
	s_delay_alu instid0(VALU_DEP_1)
	v_dual_add_f32 v11, v11, v12 :: v_dual_lshlrev_b32 v10, 2, v10
	ds_bpermute_b32 v12, v9, v11
	s_wait_dscnt 0x0
	v_add_f32_e32 v13, v11, v12
	v_and_b32_e32 v12, 63, v0
	v_lshrrev_b32_e32 v11, 4, v0
	ds_bpermute_b32 v14, v10, v13
	v_cmp_eq_u32_e64 s3, 0, v12
	s_and_saveexec_b32 s4, s3
	s_cbranch_execz .LBB3_6
; %bb.5:
	s_wait_dscnt 0x0
	v_add_f32_e32 v13, v13, v14
	ds_store_b32 v11, v13
.LBB3_6:
	s_wait_alu 0xfffe
	s_or_b32 exec_lo, exec_lo, s4
	s_wait_dscnt 0x0
	s_barrier_signal -1
	s_barrier_wait -1
	global_inv scope:SCOPE_SE
	s_load_b32 s6, s[0:1], 0x3c
	v_dual_mov_b32 v13, 0 :: v_dual_lshlrev_b32 v12, 2, v12
	s_wait_kmcnt 0x0
	s_bfe_u32 s4, s6, 0xa0006
	s_wait_alu 0xfffe
	v_cmp_gt_u32_e64 s4, s4, v0
	s_and_saveexec_b32 s5, s4
; %bb.7:
	ds_load_b32 v13, v12
; %bb.8:
	s_wait_alu 0xfffe
	s_or_b32 exec_lo, exec_lo, s5
	s_wait_dscnt 0x0
	ds_bpermute_b32 v14, v4, v13
	v_cmp_eq_u32_e64 s5, 0, v0
	s_cvt_f32_i32 s7, s11
	s_wait_dscnt 0x0
	v_add_f32_e32 v13, v13, v14
	ds_bpermute_b32 v14, v5, v13
	s_wait_dscnt 0x0
	v_add_f32_e32 v13, v13, v14
	ds_bpermute_b32 v14, v6, v13
	s_wait_dscnt 0x0
	v_add_f32_e32 v13, v13, v14
	ds_bpermute_b32 v14, v8, v13
	s_wait_dscnt 0x0
	v_add_f32_e32 v13, v13, v14
	ds_bpermute_b32 v14, v9, v13
	s_wait_dscnt 0x0
	v_add_f32_e32 v13, v13, v14
	ds_bpermute_b32 v14, v10, v13
	s_and_saveexec_b32 s13, s5
	s_cbranch_execz .LBB3_10
; %bb.9:
	s_wait_dscnt 0x0
	v_add_f32_e32 v13, v13, v14
	s_wait_alu 0xfffe
	s_delay_alu instid0(VALU_DEP_1) | instskip(SKIP_1) | instid1(VALU_DEP_2)
	v_div_scale_f32 v14, null, s7, s7, v13
	v_div_scale_f32 v17, vcc_lo, v13, s7, v13
	v_rcp_f32_e32 v15, v14
	s_delay_alu instid0(TRANS32_DEP_1) | instskip(NEXT) | instid1(VALU_DEP_1)
	v_fma_f32 v16, -v14, v15, 1.0
	v_fmac_f32_e32 v15, v16, v15
	s_delay_alu instid0(VALU_DEP_1) | instskip(NEXT) | instid1(VALU_DEP_1)
	v_mul_f32_e32 v16, v17, v15
	v_fma_f32 v18, -v14, v16, v17
	s_delay_alu instid0(VALU_DEP_1) | instskip(NEXT) | instid1(VALU_DEP_1)
	v_fmac_f32_e32 v16, v18, v15
	v_fma_f32 v14, -v14, v16, v17
	s_wait_alu 0xfffd
	s_delay_alu instid0(VALU_DEP_1) | instskip(NEXT) | instid1(VALU_DEP_1)
	v_div_fmas_f32 v14, v14, v15, v16
	v_div_fixup_f32 v13, v14, s7, v13
	v_mov_b32_e32 v14, 0
	ds_store_b32 v14, v13 offset:68
.LBB3_10:
	s_wait_alu 0xfffe
	s_or_b32 exec_lo, exec_lo, s13
	s_and_b32 s6, 0xffff, s6
	s_wait_alu 0xfffe
	v_dual_mov_b32 v13, 0 :: v_dual_add_nc_u32 v0, s6, v0
	s_wait_loadcnt_dscnt 0x0
	s_barrier_signal -1
	s_barrier_wait -1
	global_inv scope:SCOPE_SE
	s_and_saveexec_b32 s13, s2
	s_cbranch_execz .LBB3_12
; %bb.11:
	v_mov_b32_e32 v13, 0
	v_cmp_gt_u32_e32 vcc_lo, s11, v0
	ds_load_b32 v13, v13 offset:68
	s_wait_dscnt 0x0
	v_sub_f32_e32 v14, v3, v13
	v_sub_f32_e32 v13, v2, v13
	s_delay_alu instid0(VALU_DEP_2) | instskip(NEXT) | instid1(VALU_DEP_1)
	v_mul_f32_e32 v14, v14, v14
	v_fma_f32 v13, v13, v13, v14
	s_wait_alu 0xfffd
	s_delay_alu instid0(VALU_DEP_1)
	v_cndmask_b32_e32 v13, v14, v13, vcc_lo
.LBB3_12:
	s_wait_alu 0xfffe
	s_or_b32 exec_lo, exec_lo, s13
	ds_bpermute_b32 v14, v4, v13
	s_wait_dscnt 0x0
	v_add_f32_e32 v13, v13, v14
	ds_bpermute_b32 v14, v5, v13
	s_wait_dscnt 0x0
	v_add_f32_e32 v13, v13, v14
	ds_bpermute_b32 v14, v6, v13
	s_wait_dscnt 0x0
	v_add_f32_e32 v13, v13, v14
	ds_bpermute_b32 v14, v8, v13
	s_wait_dscnt 0x0
	v_add_f32_e32 v13, v13, v14
	ds_bpermute_b32 v14, v9, v13
	s_wait_dscnt 0x0
	v_add_f32_e32 v13, v13, v14
	ds_bpermute_b32 v14, v10, v13
	s_and_saveexec_b32 s13, s3
	s_cbranch_execz .LBB3_14
; %bb.13:
	s_wait_dscnt 0x0
	v_add_f32_e32 v13, v13, v14
	ds_store_b32 v11, v13
.LBB3_14:
	s_wait_alu 0xfffe
	s_or_b32 exec_lo, exec_lo, s13
	v_mov_b32_e32 v11, 0
	s_wait_loadcnt_dscnt 0x0
	s_barrier_signal -1
	s_barrier_wait -1
	global_inv scope:SCOPE_SE
	s_and_saveexec_b32 s3, s4
; %bb.15:
	ds_load_b32 v11, v12
; %bb.16:
	s_or_b32 exec_lo, exec_lo, s3
	s_wait_dscnt 0x0
	ds_bpermute_b32 v4, v4, v11
	s_wait_dscnt 0x0
	v_add_f32_e32 v4, v11, v4
	ds_bpermute_b32 v5, v5, v4
	s_wait_dscnt 0x0
	v_add_f32_e32 v4, v4, v5
	ds_bpermute_b32 v5, v6, v4
	s_wait_dscnt 0x0
	v_add_f32_e32 v4, v4, v5
	ds_bpermute_b32 v5, v8, v4
	s_wait_dscnt 0x0
	v_add_f32_e32 v4, v4, v5
	ds_bpermute_b32 v5, v9, v4
	s_wait_dscnt 0x0
	v_add_f32_e32 v4, v4, v5
	ds_bpermute_b32 v5, v10, v4
	s_and_saveexec_b32 s3, s5
	s_cbranch_execz .LBB3_18
; %bb.17:
	s_wait_dscnt 0x0
	v_add_f32_e32 v4, v4, v5
	s_delay_alu instid0(VALU_DEP_1) | instskip(SKIP_1) | instid1(VALU_DEP_2)
	v_div_scale_f32 v5, null, s7, s7, v4
	v_div_scale_f32 v9, vcc_lo, v4, s7, v4
	v_rcp_f32_e32 v6, v5
	s_delay_alu instid0(TRANS32_DEP_1) | instskip(NEXT) | instid1(VALU_DEP_1)
	v_fma_f32 v8, -v5, v6, 1.0
	v_fmac_f32_e32 v6, v8, v6
	s_delay_alu instid0(VALU_DEP_1) | instskip(NEXT) | instid1(VALU_DEP_1)
	v_mul_f32_e32 v8, v9, v6
	v_fma_f32 v10, -v5, v8, v9
	s_delay_alu instid0(VALU_DEP_1) | instskip(NEXT) | instid1(VALU_DEP_1)
	v_fmac_f32_e32 v8, v10, v6
	v_fma_f32 v5, -v5, v8, v9
	s_wait_alu 0xfffd
	s_delay_alu instid0(VALU_DEP_1) | instskip(NEXT) | instid1(VALU_DEP_1)
	v_div_fmas_f32 v5, v5, v6, v8
	v_div_fixup_f32 v4, v5, s7, v4
	s_delay_alu instid0(VALU_DEP_1)
	v_dual_mov_b32 v5, 0 :: v_dual_add_f32 v4, s10, v4
	ds_store_b32 v5, v4 offset:64
.LBB3_18:
	s_or_b32 exec_lo, exec_lo, s3
	s_wait_loadcnt_dscnt 0x0
	s_barrier_signal -1
	s_barrier_wait -1
	global_inv scope:SCOPE_SE
	s_and_saveexec_b32 s3, s2
	s_cbranch_execz .LBB3_21
; %bb.19:
	s_load_b128 s[0:3], s[0:1], 0x18
	v_mov_b32_e32 v4, 0
	s_wait_kmcnt 0x0
	s_clause 0x1
	global_load_b32 v10, v7, s[0:1]
	global_load_b32 v11, v7, s[2:3]
	ds_load_b64 v[5:6], v4 offset:64
	s_wait_dscnt 0x0
	v_readfirstlane_b32 s4, v5
	v_sub_f32_e32 v5, v3, v6
	v_mov_b32_e32 v3, v1
	s_cmp_lt_f32 s4, 0x800000
	s_mul_f32 s5, s4, 0x4b800000
	s_delay_alu instid0(VALU_DEP_1) | instskip(SKIP_1) | instid1(SALU_CYCLE_1)
	v_lshlrev_b64_e32 v[8:9], 2, v[3:4]
	s_wait_alu 0xfffe
	s_cselect_b32 s4, s5, s4
	s_wait_alu 0xfffe
	v_s_rsq_f32 s4, s4
	s_delay_alu instid0(VALU_DEP_1) | instskip(SKIP_3) | instid1(TRANS32_DEP_1)
	v_add_co_u32 v8, vcc_lo, s8, v8
	s_wait_alu 0xfffd
	v_add_co_ci_u32_e64 v9, null, s9, v9, vcc_lo
	v_cmp_gt_u32_e32 vcc_lo, s11, v0
	s_mul_f32 s5, s4, 0x45800000
	s_wait_alu 0xfffe
	s_delay_alu instid0(SALU_CYCLE_2) | instskip(SKIP_3) | instid1(VALU_DEP_1)
	s_cselect_b32 s4, s5, s4
	s_wait_alu 0xfffe
	v_mul_f32_e32 v1, s4, v5
	s_wait_loadcnt 0x0
	v_fmac_f32_e32 v11, v10, v1
	global_store_b32 v[8:9], v11, off
	s_and_b32 exec_lo, exec_lo, vcc_lo
	s_cbranch_execz .LBB3_21
; %bb.20:
	v_add_co_u32 v1, s0, s0, v7
	s_wait_alu 0xf1ff
	v_add_co_ci_u32_e64 v3, null, s1, 0, s0
	v_add_co_u32 v5, s0, s2, v7
	s_wait_alu 0xf1ff
	v_add_co_ci_u32_e64 v10, null, s3, 0, s0
	s_lshl_b32 s0, s6, 2
	s_wait_alu 0xfffe
	v_add_co_u32 v7, vcc_lo, v1, s0
	s_wait_alu 0xfffd
	v_add_co_ci_u32_e64 v8, null, 0, v3, vcc_lo
	v_add_co_u32 v9, vcc_lo, v5, s0
	s_wait_alu 0xfffd
	v_add_co_ci_u32_e64 v10, null, 0, v10, vcc_lo
	global_load_b32 v5, v[7:8], off
	global_load_b32 v7, v[9:10], off
	v_sub_f32_e32 v1, v2, v6
	s_delay_alu instid0(VALU_DEP_1) | instskip(NEXT) | instid1(VALU_DEP_1)
	v_dual_mul_f32 v2, s4, v1 :: v_dual_add_nc_u32 v3, s12, v0
	v_lshlrev_b64_e32 v[0:1], 2, v[3:4]
	s_delay_alu instid0(VALU_DEP_1) | instskip(SKIP_1) | instid1(VALU_DEP_2)
	v_add_co_u32 v0, vcc_lo, s8, v0
	s_wait_alu 0xfffd
	v_add_co_ci_u32_e64 v1, null, s9, v1, vcc_lo
	s_wait_loadcnt 0x0
	v_fmac_f32_e32 v7, v5, v2
	global_store_b32 v[0:1], v7, off
.LBB3_21:
	s_endpgm
	.section	.rodata,"a",@progbits
	.p2align	6, 0x0
	.amdhsa_kernel _Z28addBiasResidualPostLayerNormIfLi2ELi64EEvPT_PKS0_S3_S3_S3_fi
		.amdhsa_group_segment_fixed_size 72
		.amdhsa_private_segment_fixed_size 0
		.amdhsa_kernarg_size 304
		.amdhsa_user_sgpr_count 2
		.amdhsa_user_sgpr_dispatch_ptr 0
		.amdhsa_user_sgpr_queue_ptr 0
		.amdhsa_user_sgpr_kernarg_segment_ptr 1
		.amdhsa_user_sgpr_dispatch_id 0
		.amdhsa_user_sgpr_private_segment_size 0
		.amdhsa_wavefront_size32 1
		.amdhsa_uses_dynamic_stack 0
		.amdhsa_enable_private_segment 0
		.amdhsa_system_sgpr_workgroup_id_x 1
		.amdhsa_system_sgpr_workgroup_id_y 0
		.amdhsa_system_sgpr_workgroup_id_z 0
		.amdhsa_system_sgpr_workgroup_info 0
		.amdhsa_system_vgpr_workitem_id 0
		.amdhsa_next_free_vgpr 19
		.amdhsa_next_free_sgpr 15
		.amdhsa_reserve_vcc 1
		.amdhsa_float_round_mode_32 0
		.amdhsa_float_round_mode_16_64 0
		.amdhsa_float_denorm_mode_32 3
		.amdhsa_float_denorm_mode_16_64 3
		.amdhsa_fp16_overflow 0
		.amdhsa_workgroup_processor_mode 1
		.amdhsa_memory_ordered 1
		.amdhsa_forward_progress 1
		.amdhsa_inst_pref_size 16
		.amdhsa_round_robin_scheduling 0
		.amdhsa_exception_fp_ieee_invalid_op 0
		.amdhsa_exception_fp_denorm_src 0
		.amdhsa_exception_fp_ieee_div_zero 0
		.amdhsa_exception_fp_ieee_overflow 0
		.amdhsa_exception_fp_ieee_underflow 0
		.amdhsa_exception_fp_ieee_inexact 0
		.amdhsa_exception_int_div_zero 0
	.end_amdhsa_kernel
	.section	.text._Z28addBiasResidualPostLayerNormIfLi2ELi64EEvPT_PKS0_S3_S3_S3_fi,"axG",@progbits,_Z28addBiasResidualPostLayerNormIfLi2ELi64EEvPT_PKS0_S3_S3_S3_fi,comdat
.Lfunc_end3:
	.size	_Z28addBiasResidualPostLayerNormIfLi2ELi64EEvPT_PKS0_S3_S3_S3_fi, .Lfunc_end3-_Z28addBiasResidualPostLayerNormIfLi2ELi64EEvPT_PKS0_S3_S3_S3_fi
                                        ; -- End function
	.set _Z28addBiasResidualPostLayerNormIfLi2ELi64EEvPT_PKS0_S3_S3_S3_fi.num_vgpr, 19
	.set _Z28addBiasResidualPostLayerNormIfLi2ELi64EEvPT_PKS0_S3_S3_S3_fi.num_agpr, 0
	.set _Z28addBiasResidualPostLayerNormIfLi2ELi64EEvPT_PKS0_S3_S3_S3_fi.numbered_sgpr, 15
	.set _Z28addBiasResidualPostLayerNormIfLi2ELi64EEvPT_PKS0_S3_S3_S3_fi.num_named_barrier, 0
	.set _Z28addBiasResidualPostLayerNormIfLi2ELi64EEvPT_PKS0_S3_S3_S3_fi.private_seg_size, 0
	.set _Z28addBiasResidualPostLayerNormIfLi2ELi64EEvPT_PKS0_S3_S3_S3_fi.uses_vcc, 1
	.set _Z28addBiasResidualPostLayerNormIfLi2ELi64EEvPT_PKS0_S3_S3_S3_fi.uses_flat_scratch, 0
	.set _Z28addBiasResidualPostLayerNormIfLi2ELi64EEvPT_PKS0_S3_S3_S3_fi.has_dyn_sized_stack, 0
	.set _Z28addBiasResidualPostLayerNormIfLi2ELi64EEvPT_PKS0_S3_S3_S3_fi.has_recursion, 0
	.set _Z28addBiasResidualPostLayerNormIfLi2ELi64EEvPT_PKS0_S3_S3_S3_fi.has_indirect_call, 0
	.section	.AMDGPU.csdata,"",@progbits
; Kernel info:
; codeLenInByte = 1944
; TotalNumSgprs: 17
; NumVgprs: 19
; ScratchSize: 0
; MemoryBound: 0
; FloatMode: 240
; IeeeMode: 1
; LDSByteSize: 72 bytes/workgroup (compile time only)
; SGPRBlocks: 0
; VGPRBlocks: 2
; NumSGPRsForWavesPerEU: 17
; NumVGPRsForWavesPerEU: 19
; Occupancy: 16
; WaveLimiterHint : 0
; COMPUTE_PGM_RSRC2:SCRATCH_EN: 0
; COMPUTE_PGM_RSRC2:USER_SGPR: 2
; COMPUTE_PGM_RSRC2:TRAP_HANDLER: 0
; COMPUTE_PGM_RSRC2:TGID_X_EN: 1
; COMPUTE_PGM_RSRC2:TGID_Y_EN: 0
; COMPUTE_PGM_RSRC2:TGID_Z_EN: 0
; COMPUTE_PGM_RSRC2:TIDIG_COMP_CNT: 0
	.section	.text._Z35generalAddBiasResidualPostLayerNormIfLi64EEvPT_PKS0_S3_S3_S3_fi,"axG",@progbits,_Z35generalAddBiasResidualPostLayerNormIfLi64EEvPT_PKS0_S3_S3_S3_fi,comdat
	.protected	_Z35generalAddBiasResidualPostLayerNormIfLi64EEvPT_PKS0_S3_S3_S3_fi ; -- Begin function _Z35generalAddBiasResidualPostLayerNormIfLi64EEvPT_PKS0_S3_S3_S3_fi
	.globl	_Z35generalAddBiasResidualPostLayerNormIfLi64EEvPT_PKS0_S3_S3_S3_fi
	.p2align	8
	.type	_Z35generalAddBiasResidualPostLayerNormIfLi64EEvPT_PKS0_S3_S3_S3_fi,@function
_Z35generalAddBiasResidualPostLayerNormIfLi64EEvPT_PKS0_S3_S3_S3_fi: ; @_Z35generalAddBiasResidualPostLayerNormIfLi64EEvPT_PKS0_S3_S3_S3_fi
; %bb.0:
	s_clause 0x2
	s_load_b64 s[14:15], s[0:1], 0x28
	s_load_b64 s[12:13], s[0:1], 0x0
	s_load_b128 s[4:7], s[0:1], 0x18
	v_mov_b32_e32 v3, 0
	s_wait_kmcnt 0x0
	s_lshr_b32 s2, s15, 31
	s_mul_i32 s17, s15, ttmp9
	s_add_co_i32 s2, s15, s2
	s_delay_alu instid0(SALU_CYCLE_1) | instskip(NEXT) | instid1(SALU_CYCLE_1)
	s_ashr_i32 s16, s2, 1
	v_cmp_gt_i32_e64 s2, s16, v0
	s_and_saveexec_b32 s18, s2
	s_cbranch_execz .LBB4_4
; %bb.1:
	s_clause 0x1
	s_load_b128 s[8:11], s[0:1], 0x8
	s_load_b32 s3, s[0:1], 0x3c
	v_dual_mov_b32 v4, v0 :: v_dual_lshlrev_b32 v1, 3, v0
	v_mov_b32_e32 v3, 0
	s_lshr_b32 s19, s17, 1
	s_wait_kmcnt 0x0
	s_delay_alu instid0(VALU_DEP_2) | instskip(SKIP_4) | instid1(VALU_DEP_1)
	v_add_co_u32 v1, s10, s10, v1
	s_wait_alu 0xf1ff
	v_add_co_ci_u32_e64 v2, null, s11, 0, s10
	s_and_b32 s11, s3, 0xffff
	v_add_co_u32 v1, vcc_lo, v1, 4
	v_add_co_ci_u32_e64 v2, null, 0, v2, vcc_lo
	s_mov_b32 s10, 0
	s_wait_alu 0xfffe
	s_lshl_b32 s20, s11, 3
.LBB4_2:                                ; =>This Inner Loop Header: Depth=1
	v_add_nc_u32_e32 v5, s19, v4
	v_add_nc_u32_e32 v4, s11, v4
	s_delay_alu instid0(VALU_DEP_2) | instskip(NEXT) | instid1(VALU_DEP_2)
	v_ashrrev_i32_e32 v6, 31, v5
	v_cmp_le_i32_e64 s3, s16, v4
	s_delay_alu instid0(VALU_DEP_2) | instskip(SKIP_1) | instid1(VALU_DEP_1)
	v_lshlrev_b64_e32 v[5:6], 3, v[5:6]
	s_or_b32 s10, s3, s10
	v_add_co_u32 v7, vcc_lo, s12, v5
	s_wait_alu 0xfffd
	s_delay_alu instid0(VALU_DEP_2)
	v_add_co_ci_u32_e64 v8, null, s13, v6, vcc_lo
	v_add_co_u32 v5, vcc_lo, s8, v5
	s_wait_alu 0xfffd
	v_add_co_ci_u32_e64 v6, null, s9, v6, vcc_lo
	global_load_b64 v[9:10], v[7:8], off
	global_load_b64 v[5:6], v[5:6], off
	global_load_b64 v[11:12], v[1:2], off offset:-4
	v_add_co_u32 v1, vcc_lo, v1, s20
	s_wait_alu 0xfffd
	v_add_co_ci_u32_e64 v2, null, 0, v2, vcc_lo
	s_wait_loadcnt 0x1
	v_dual_add_f32 v5, v9, v5 :: v_dual_add_f32 v6, v10, v6
	s_wait_loadcnt 0x0
	s_delay_alu instid0(VALU_DEP_1) | instskip(NEXT) | instid1(VALU_DEP_1)
	v_dual_add_f32 v5, v5, v11 :: v_dual_add_f32 v6, v6, v12
	v_add_f32_e32 v3, v3, v5
	global_store_b64 v[7:8], v[5:6], off
	v_add_f32_e32 v3, v3, v6
	s_wait_alu 0xfffe
	s_and_not1_b32 exec_lo, exec_lo, s10
	s_cbranch_execnz .LBB4_2
; %bb.3:
	s_or_b32 exec_lo, exec_lo, s10
.LBB4_4:
	s_delay_alu instid0(SALU_CYCLE_1) | instskip(SKIP_1) | instid1(VALU_DEP_1)
	s_or_b32 exec_lo, exec_lo, s18
	v_mbcnt_lo_u32_b32 v6, -1, 0
	v_or_b32_e32 v1, 32, v6
	v_xor_b32_e32 v2, 16, v6
	v_xor_b32_e32 v9, 1, v6
	s_delay_alu instid0(VALU_DEP_3)
	v_cmp_gt_i32_e32 vcc_lo, 64, v1
	s_wait_alu 0xfffd
	v_cndmask_b32_e32 v1, v6, v1, vcc_lo
	v_cmp_gt_i32_e32 vcc_lo, 64, v2
	s_wait_alu 0xfffd
	v_cndmask_b32_e32 v2, v6, v2, vcc_lo
	s_delay_alu instid0(VALU_DEP_1)
	v_lshlrev_b32_e32 v2, 2, v2
	v_lshlrev_b32_e32 v1, 2, v1
	ds_bpermute_b32 v4, v1, v3
	s_wait_dscnt 0x0
	v_add_f32_e32 v4, v3, v4
	v_xor_b32_e32 v3, 8, v6
	ds_bpermute_b32 v5, v2, v4
	v_cmp_gt_i32_e32 vcc_lo, 64, v3
	s_wait_alu 0xfffd
	v_cndmask_b32_e32 v3, v6, v3, vcc_lo
	s_wait_dscnt 0x0
	v_add_f32_e32 v5, v4, v5
	v_xor_b32_e32 v4, 4, v6
	s_delay_alu instid0(VALU_DEP_1) | instskip(SKIP_2) | instid1(VALU_DEP_1)
	v_cmp_gt_i32_e32 vcc_lo, 64, v4
	s_wait_alu 0xfffd
	v_cndmask_b32_e32 v4, v6, v4, vcc_lo
	v_lshlrev_b32_e32 v4, 2, v4
	v_lshlrev_b32_e32 v3, 2, v3
	ds_bpermute_b32 v7, v3, v5
	s_wait_dscnt 0x0
	v_add_f32_e32 v7, v5, v7
	v_xor_b32_e32 v5, 2, v6
	s_delay_alu instid0(VALU_DEP_1)
	v_cmp_gt_i32_e32 vcc_lo, 64, v5
	s_wait_alu 0xfffd
	v_cndmask_b32_e32 v5, v6, v5, vcc_lo
	v_cmp_gt_i32_e32 vcc_lo, 64, v9
	s_wait_alu 0xfffd
	v_cndmask_b32_e32 v6, v6, v9, vcc_lo
	ds_bpermute_b32 v8, v4, v7
	v_lshlrev_b32_e32 v6, 2, v6
	v_lshlrev_b32_e32 v5, 2, v5
	s_wait_dscnt 0x0
	v_add_f32_e32 v7, v7, v8
	ds_bpermute_b32 v8, v5, v7
	s_wait_dscnt 0x0
	v_add_f32_e32 v9, v7, v8
	v_and_b32_e32 v8, 63, v0
	v_lshrrev_b32_e32 v7, 4, v0
	ds_bpermute_b32 v10, v6, v9
	v_cmp_eq_u32_e64 s3, 0, v8
	s_and_saveexec_b32 s8, s3
	s_cbranch_execz .LBB4_6
; %bb.5:
	s_wait_dscnt 0x0
	v_add_f32_e32 v9, v9, v10
	ds_store_b32 v7, v9
.LBB4_6:
	s_wait_alu 0xfffe
	s_or_b32 exec_lo, exec_lo, s8
	s_wait_storecnt_dscnt 0x0
	s_barrier_signal -1
	s_barrier_wait -1
	global_inv scope:SCOPE_SE
	s_load_b32 s8, s[0:1], 0x3c
	v_dual_mov_b32 v9, 0 :: v_dual_lshlrev_b32 v8, 2, v8
	s_wait_kmcnt 0x0
	s_bfe_u32 s0, s8, 0xa0006
	s_delay_alu instid0(SALU_CYCLE_1)
	v_cmp_gt_u32_e64 s0, s0, v0
	s_and_saveexec_b32 s1, s0
; %bb.7:
	ds_load_b32 v9, v8
; %bb.8:
	s_wait_alu 0xfffe
	s_or_b32 exec_lo, exec_lo, s1
	s_wait_dscnt 0x0
	ds_bpermute_b32 v10, v1, v9
	v_cmp_eq_u32_e64 s1, 0, v0
	s_cvt_f32_i32 s9, s15
	s_wait_dscnt 0x0
	v_add_f32_e32 v9, v9, v10
	ds_bpermute_b32 v10, v2, v9
	s_wait_dscnt 0x0
	v_add_f32_e32 v9, v9, v10
	ds_bpermute_b32 v10, v3, v9
	;; [unrolled: 3-line block ×5, first 2 shown]
	s_and_saveexec_b32 s10, s1
	s_cbranch_execz .LBB4_10
; %bb.9:
	s_wait_dscnt 0x0
	v_add_f32_e32 v9, v9, v10
	s_wait_alu 0xfffe
	s_delay_alu instid0(VALU_DEP_1) | instskip(SKIP_1) | instid1(VALU_DEP_2)
	v_div_scale_f32 v10, null, s9, s9, v9
	v_div_scale_f32 v13, vcc_lo, v9, s9, v9
	v_rcp_f32_e32 v11, v10
	s_delay_alu instid0(TRANS32_DEP_1) | instskip(NEXT) | instid1(VALU_DEP_1)
	v_fma_f32 v12, -v10, v11, 1.0
	v_fmac_f32_e32 v11, v12, v11
	s_delay_alu instid0(VALU_DEP_1) | instskip(NEXT) | instid1(VALU_DEP_1)
	v_mul_f32_e32 v12, v13, v11
	v_fma_f32 v14, -v10, v12, v13
	s_delay_alu instid0(VALU_DEP_1) | instskip(NEXT) | instid1(VALU_DEP_1)
	v_fmac_f32_e32 v12, v14, v11
	v_fma_f32 v10, -v10, v12, v13
	s_wait_alu 0xfffd
	s_delay_alu instid0(VALU_DEP_1) | instskip(NEXT) | instid1(VALU_DEP_1)
	v_div_fmas_f32 v10, v10, v11, v12
	v_div_fixup_f32 v9, v10, s9, v9
	v_mov_b32_e32 v10, 0
	ds_store_b32 v10, v9 offset:68
.LBB4_10:
	s_wait_alu 0xfffe
	s_or_b32 exec_lo, exec_lo, s10
	v_mov_b32_e32 v9, 0
	s_and_b32 s8, 0xffff, s8
	s_wait_loadcnt_dscnt 0x0
	s_barrier_signal -1
	s_barrier_wait -1
	global_inv scope:SCOPE_SE
	s_and_saveexec_b32 s10, s2
	s_cbranch_execz .LBB4_14
; %bb.11:
	v_mov_b32_e32 v9, 0
	v_mov_b32_e32 v11, v0
	s_lshr_b32 s15, s17, 1
	s_mov_b32 s11, 0
	ds_load_b32 v10, v9 offset:68
.LBB4_12:                               ; =>This Inner Loop Header: Depth=1
	v_add_nc_u32_e32 v12, s15, v11
	s_wait_alu 0xfffe
	v_add_nc_u32_e32 v11, s8, v11
	s_delay_alu instid0(VALU_DEP_2) | instskip(NEXT) | instid1(VALU_DEP_1)
	v_ashrrev_i32_e32 v13, 31, v12
	v_lshlrev_b64_e32 v[12:13], 3, v[12:13]
	s_delay_alu instid0(VALU_DEP_1) | instskip(SKIP_1) | instid1(VALU_DEP_2)
	v_add_co_u32 v12, vcc_lo, s12, v12
	s_wait_alu 0xfffd
	v_add_co_ci_u32_e64 v13, null, s13, v13, vcc_lo
	v_cmp_le_i32_e32 vcc_lo, s16, v11
	global_load_b64 v[12:13], v[12:13], off
	s_or_b32 s11, vcc_lo, s11
	s_wait_loadcnt_dscnt 0x0
	v_sub_f32_e32 v12, v12, v10
	v_sub_f32_e32 v13, v13, v10
	s_delay_alu instid0(VALU_DEP_2) | instskip(NEXT) | instid1(VALU_DEP_1)
	v_fmac_f32_e32 v9, v12, v12
	v_fmac_f32_e32 v9, v13, v13
	s_wait_alu 0xfffe
	s_and_not1_b32 exec_lo, exec_lo, s11
	s_cbranch_execnz .LBB4_12
; %bb.13:
	s_or_b32 exec_lo, exec_lo, s11
.LBB4_14:
	s_wait_alu 0xfffe
	s_or_b32 exec_lo, exec_lo, s10
	ds_bpermute_b32 v10, v1, v9
	s_wait_dscnt 0x0
	v_add_f32_e32 v9, v9, v10
	ds_bpermute_b32 v10, v2, v9
	s_wait_dscnt 0x0
	v_add_f32_e32 v9, v9, v10
	;; [unrolled: 3-line block ×5, first 2 shown]
	ds_bpermute_b32 v10, v6, v9
	s_and_saveexec_b32 s10, s3
	s_cbranch_execz .LBB4_16
; %bb.15:
	s_wait_dscnt 0x0
	v_add_f32_e32 v9, v9, v10
	ds_store_b32 v7, v9
.LBB4_16:
	s_wait_alu 0xfffe
	s_or_b32 exec_lo, exec_lo, s10
	v_mov_b32_e32 v7, 0
	s_wait_loadcnt_dscnt 0x0
	s_barrier_signal -1
	s_barrier_wait -1
	global_inv scope:SCOPE_SE
	s_and_saveexec_b32 s3, s0
; %bb.17:
	ds_load_b32 v7, v8
; %bb.18:
	s_or_b32 exec_lo, exec_lo, s3
	s_wait_dscnt 0x0
	ds_bpermute_b32 v1, v1, v7
	s_wait_dscnt 0x0
	v_add_f32_e32 v1, v7, v1
	ds_bpermute_b32 v2, v2, v1
	s_wait_dscnt 0x0
	v_add_f32_e32 v1, v1, v2
	;; [unrolled: 3-line block ×5, first 2 shown]
	ds_bpermute_b32 v2, v6, v1
	s_and_saveexec_b32 s0, s1
	s_cbranch_execz .LBB4_20
; %bb.19:
	s_wait_dscnt 0x0
	v_add_f32_e32 v1, v1, v2
	s_delay_alu instid0(VALU_DEP_1) | instskip(SKIP_1) | instid1(VALU_DEP_2)
	v_div_scale_f32 v2, null, s9, s9, v1
	v_div_scale_f32 v5, vcc_lo, v1, s9, v1
	v_rcp_f32_e32 v3, v2
	s_delay_alu instid0(TRANS32_DEP_1) | instskip(NEXT) | instid1(VALU_DEP_1)
	v_fma_f32 v4, -v2, v3, 1.0
	v_fmac_f32_e32 v3, v4, v3
	s_delay_alu instid0(VALU_DEP_1) | instskip(NEXT) | instid1(VALU_DEP_1)
	v_mul_f32_e32 v4, v5, v3
	v_fma_f32 v6, -v2, v4, v5
	s_delay_alu instid0(VALU_DEP_1) | instskip(NEXT) | instid1(VALU_DEP_1)
	v_fmac_f32_e32 v4, v6, v3
	v_fma_f32 v2, -v2, v4, v5
	s_wait_alu 0xfffd
	s_delay_alu instid0(VALU_DEP_1) | instskip(NEXT) | instid1(VALU_DEP_1)
	v_div_fmas_f32 v2, v2, v3, v4
	v_div_fixup_f32 v1, v2, s9, v1
	s_delay_alu instid0(VALU_DEP_1) | instskip(NEXT) | instid1(VALU_DEP_1)
	v_add_f32_e32 v1, s14, v1
	v_mul_f32_e32 v2, 0x4b800000, v1
	v_cmp_gt_f32_e32 vcc_lo, 0x800000, v1
	s_wait_alu 0xfffd
	s_delay_alu instid0(VALU_DEP_2) | instskip(NEXT) | instid1(VALU_DEP_1)
	v_cndmask_b32_e32 v1, v1, v2, vcc_lo
	v_rsq_f32_e32 v1, v1
	s_delay_alu instid0(TRANS32_DEP_1) | instskip(NEXT) | instid1(VALU_DEP_1)
	v_mul_f32_e32 v2, 0x45800000, v1
	v_dual_cndmask_b32 v1, v1, v2 :: v_dual_mov_b32 v2, 0
	ds_store_b32 v2, v1 offset:64
.LBB4_20:
	s_wait_alu 0xfffe
	s_or_b32 exec_lo, exec_lo, s0
	s_wait_loadcnt_dscnt 0x0
	s_barrier_signal -1
	s_barrier_wait -1
	global_inv scope:SCOPE_SE
	s_and_saveexec_b32 s0, s2
	s_cbranch_execz .LBB4_23
; %bb.21:
	v_mov_b32_e32 v3, 0
	v_lshl_or_b32 v4, v0, 3, 4
	s_lshr_b32 s1, s17, 1
	s_mov_b32 s2, 0
	s_lshl_b32 s3, s8, 3
	ds_load_b64 v[1:2], v3 offset:64
.LBB4_22:                               ; =>This Inner Loop Header: Depth=1
	s_wait_alu 0xfffe
	v_add_nc_u32_e32 v5, s1, v0
	v_add_co_u32 v7, vcc_lo, s4, v4
	s_wait_alu 0xfffd
	v_add_co_ci_u32_e64 v8, null, s5, v3, vcc_lo
	s_delay_alu instid0(VALU_DEP_3) | instskip(SKIP_3) | instid1(VALU_DEP_3)
	v_ashrrev_i32_e32 v6, 31, v5
	v_add_co_u32 v11, vcc_lo, s6, v4
	s_wait_alu 0xfffd
	v_add_co_ci_u32_e64 v12, null, s7, v3, vcc_lo
	v_lshlrev_b64_e32 v[5:6], 3, v[5:6]
	v_add_co_u32 v4, vcc_lo, v4, s3
	s_wait_alu 0xfffd
	v_add_co_ci_u32_e64 v3, null, 0, v3, vcc_lo
	v_add_nc_u32_e32 v0, s8, v0
	s_delay_alu instid0(VALU_DEP_4) | instskip(SKIP_2) | instid1(VALU_DEP_3)
	v_add_co_u32 v5, s0, s12, v5
	s_wait_alu 0xf1ff
	v_add_co_ci_u32_e64 v6, null, s13, v6, s0
	v_cmp_le_i32_e64 s0, s16, v0
	global_load_b64 v[9:10], v[5:6], off
	global_load_b64 v[7:8], v[7:8], off offset:-4
	global_load_b64 v[11:12], v[11:12], off offset:-4
	s_or_b32 s2, s0, s2
	s_wait_loadcnt_dscnt 0x200
	v_sub_f32_e32 v9, v9, v2
	v_sub_f32_e32 v10, v10, v2
	s_delay_alu instid0(VALU_DEP_1) | instskip(SKIP_1) | instid1(VALU_DEP_1)
	v_mul_f32_e32 v10, v10, v1
	s_wait_loadcnt 0x0
	v_dual_mul_f32 v9, v9, v1 :: v_dual_fmac_f32 v12, v8, v10
	s_delay_alu instid0(VALU_DEP_1)
	v_fma_f32 v11, v7, v9, v11
	global_store_b64 v[5:6], v[11:12], off
	s_wait_alu 0xfffe
	s_and_not1_b32 exec_lo, exec_lo, s2
	s_cbranch_execnz .LBB4_22
.LBB4_23:
	s_endpgm
	.section	.rodata,"a",@progbits
	.p2align	6, 0x0
	.amdhsa_kernel _Z35generalAddBiasResidualPostLayerNormIfLi64EEvPT_PKS0_S3_S3_S3_fi
		.amdhsa_group_segment_fixed_size 72
		.amdhsa_private_segment_fixed_size 0
		.amdhsa_kernarg_size 304
		.amdhsa_user_sgpr_count 2
		.amdhsa_user_sgpr_dispatch_ptr 0
		.amdhsa_user_sgpr_queue_ptr 0
		.amdhsa_user_sgpr_kernarg_segment_ptr 1
		.amdhsa_user_sgpr_dispatch_id 0
		.amdhsa_user_sgpr_private_segment_size 0
		.amdhsa_wavefront_size32 1
		.amdhsa_uses_dynamic_stack 0
		.amdhsa_enable_private_segment 0
		.amdhsa_system_sgpr_workgroup_id_x 1
		.amdhsa_system_sgpr_workgroup_id_y 0
		.amdhsa_system_sgpr_workgroup_id_z 0
		.amdhsa_system_sgpr_workgroup_info 0
		.amdhsa_system_vgpr_workitem_id 0
		.amdhsa_next_free_vgpr 15
		.amdhsa_next_free_sgpr 21
		.amdhsa_reserve_vcc 1
		.amdhsa_float_round_mode_32 0
		.amdhsa_float_round_mode_16_64 0
		.amdhsa_float_denorm_mode_32 3
		.amdhsa_float_denorm_mode_16_64 3
		.amdhsa_fp16_overflow 0
		.amdhsa_workgroup_processor_mode 1
		.amdhsa_memory_ordered 1
		.amdhsa_forward_progress 1
		.amdhsa_inst_pref_size 15
		.amdhsa_round_robin_scheduling 0
		.amdhsa_exception_fp_ieee_invalid_op 0
		.amdhsa_exception_fp_denorm_src 0
		.amdhsa_exception_fp_ieee_div_zero 0
		.amdhsa_exception_fp_ieee_overflow 0
		.amdhsa_exception_fp_ieee_underflow 0
		.amdhsa_exception_fp_ieee_inexact 0
		.amdhsa_exception_int_div_zero 0
	.end_amdhsa_kernel
	.section	.text._Z35generalAddBiasResidualPostLayerNormIfLi64EEvPT_PKS0_S3_S3_S3_fi,"axG",@progbits,_Z35generalAddBiasResidualPostLayerNormIfLi64EEvPT_PKS0_S3_S3_S3_fi,comdat
.Lfunc_end4:
	.size	_Z35generalAddBiasResidualPostLayerNormIfLi64EEvPT_PKS0_S3_S3_S3_fi, .Lfunc_end4-_Z35generalAddBiasResidualPostLayerNormIfLi64EEvPT_PKS0_S3_S3_S3_fi
                                        ; -- End function
	.set _Z35generalAddBiasResidualPostLayerNormIfLi64EEvPT_PKS0_S3_S3_S3_fi.num_vgpr, 15
	.set _Z35generalAddBiasResidualPostLayerNormIfLi64EEvPT_PKS0_S3_S3_S3_fi.num_agpr, 0
	.set _Z35generalAddBiasResidualPostLayerNormIfLi64EEvPT_PKS0_S3_S3_S3_fi.numbered_sgpr, 21
	.set _Z35generalAddBiasResidualPostLayerNormIfLi64EEvPT_PKS0_S3_S3_S3_fi.num_named_barrier, 0
	.set _Z35generalAddBiasResidualPostLayerNormIfLi64EEvPT_PKS0_S3_S3_S3_fi.private_seg_size, 0
	.set _Z35generalAddBiasResidualPostLayerNormIfLi64EEvPT_PKS0_S3_S3_S3_fi.uses_vcc, 1
	.set _Z35generalAddBiasResidualPostLayerNormIfLi64EEvPT_PKS0_S3_S3_S3_fi.uses_flat_scratch, 0
	.set _Z35generalAddBiasResidualPostLayerNormIfLi64EEvPT_PKS0_S3_S3_S3_fi.has_dyn_sized_stack, 0
	.set _Z35generalAddBiasResidualPostLayerNormIfLi64EEvPT_PKS0_S3_S3_S3_fi.has_recursion, 0
	.set _Z35generalAddBiasResidualPostLayerNormIfLi64EEvPT_PKS0_S3_S3_S3_fi.has_indirect_call, 0
	.section	.AMDGPU.csdata,"",@progbits
; Kernel info:
; codeLenInByte = 1904
; TotalNumSgprs: 23
; NumVgprs: 15
; ScratchSize: 0
; MemoryBound: 0
; FloatMode: 240
; IeeeMode: 1
; LDSByteSize: 72 bytes/workgroup (compile time only)
; SGPRBlocks: 0
; VGPRBlocks: 1
; NumSGPRsForWavesPerEU: 23
; NumVGPRsForWavesPerEU: 15
; Occupancy: 16
; WaveLimiterHint : 0
; COMPUTE_PGM_RSRC2:SCRATCH_EN: 0
; COMPUTE_PGM_RSRC2:USER_SGPR: 2
; COMPUTE_PGM_RSRC2:TRAP_HANDLER: 0
; COMPUTE_PGM_RSRC2:TGID_X_EN: 1
; COMPUTE_PGM_RSRC2:TGID_Y_EN: 0
; COMPUTE_PGM_RSRC2:TGID_Z_EN: 0
; COMPUTE_PGM_RSRC2:TIDIG_COMP_CNT: 0
	.section	.text._Z28addBiasResidualPostLayerNormIfLi1ELi32EEvPT_PKS0_S3_S3_S3_fi,"axG",@progbits,_Z28addBiasResidualPostLayerNormIfLi1ELi32EEvPT_PKS0_S3_S3_S3_fi,comdat
	.protected	_Z28addBiasResidualPostLayerNormIfLi1ELi32EEvPT_PKS0_S3_S3_S3_fi ; -- Begin function _Z28addBiasResidualPostLayerNormIfLi1ELi32EEvPT_PKS0_S3_S3_S3_fi
	.globl	_Z28addBiasResidualPostLayerNormIfLi1ELi32EEvPT_PKS0_S3_S3_S3_fi
	.p2align	8
	.type	_Z28addBiasResidualPostLayerNormIfLi1ELi32EEvPT_PKS0_S3_S3_S3_fi,@function
_Z28addBiasResidualPostLayerNormIfLi1ELi32EEvPT_PKS0_S3_S3_S3_fi: ; @_Z28addBiasResidualPostLayerNormIfLi1ELi32EEvPT_PKS0_S3_S3_S3_fi
; %bb.0:
	s_clause 0x1
	s_load_b64 s[8:9], s[0:1], 0x28
	s_load_b64 s[6:7], s[0:1], 0x0
	v_mov_b32_e32 v5, 0
	v_lshlrev_b32_e32 v1, 2, v0
                                        ; implicit-def: $vgpr2
	s_wait_kmcnt 0x0
	v_cmp_gt_i32_e64 s2, s9, v0
	s_and_saveexec_b32 s3, s2
	s_cbranch_execz .LBB5_2
; %bb.1:
	s_load_b128 s[12:15], s[0:1], 0x8
	v_mad_co_u64_u32 v[2:3], null, s9, ttmp9, v[0:1]
	v_mov_b32_e32 v3, 0
	s_delay_alu instid0(VALU_DEP_1) | instskip(NEXT) | instid1(VALU_DEP_1)
	v_lshlrev_b64_e32 v[2:3], 2, v[2:3]
	v_add_co_u32 v4, vcc_lo, s6, v2
	s_delay_alu instid0(VALU_DEP_1)
	v_add_co_ci_u32_e64 v5, null, s7, v3, vcc_lo
	s_wait_kmcnt 0x0
	v_add_co_u32 v2, vcc_lo, s12, v2
	s_wait_alu 0xfffd
	v_add_co_ci_u32_e64 v3, null, s13, v3, vcc_lo
	global_load_b32 v4, v[4:5], off
	global_load_b32 v2, v[2:3], off
	global_load_b32 v3, v1, s[14:15]
	s_wait_loadcnt 0x1
	v_add_f32_e32 v2, v4, v2
	s_wait_loadcnt 0x0
	s_delay_alu instid0(VALU_DEP_1) | instskip(NEXT) | instid1(VALU_DEP_1)
	v_add_f32_e32 v2, v2, v3
	v_add_f32_e32 v5, 0, v2
.LBB5_2:
	s_or_b32 exec_lo, exec_lo, s3
	v_mbcnt_lo_u32_b32 v7, -1, 0
	s_delay_alu instid0(VALU_DEP_1) | instskip(SKIP_2) | instid1(VALU_DEP_3)
	v_xor_b32_e32 v3, 16, v7
	v_xor_b32_e32 v4, 8, v7
	;; [unrolled: 1-line block ×3, first 2 shown]
	v_cmp_gt_i32_e32 vcc_lo, 32, v3
	s_wait_alu 0xfffd
	v_cndmask_b32_e32 v3, v7, v3, vcc_lo
	v_cmp_gt_i32_e32 vcc_lo, 32, v4
	s_wait_alu 0xfffd
	v_cndmask_b32_e32 v4, v7, v4, vcc_lo
	s_delay_alu instid0(VALU_DEP_1)
	v_lshlrev_b32_e32 v4, 2, v4
	v_lshlrev_b32_e32 v3, 2, v3
	ds_bpermute_b32 v6, v3, v5
	s_wait_dscnt 0x0
	v_add_f32_e32 v6, v5, v6
	v_xor_b32_e32 v5, 4, v7
	ds_bpermute_b32 v8, v4, v6
	v_cmp_gt_i32_e32 vcc_lo, 32, v5
	s_wait_dscnt 0x0
	s_wait_alu 0xfffd
	v_dual_cndmask_b32 v5, v7, v5 :: v_dual_add_f32 v8, v6, v8
	s_delay_alu instid0(VALU_DEP_1)
	v_lshlrev_b32_e32 v5, 2, v5
	v_xor_b32_e32 v6, 2, v7
	ds_bpermute_b32 v9, v5, v8
	v_cmp_gt_i32_e32 vcc_lo, 32, v6
	s_wait_alu 0xfffd
	v_cndmask_b32_e32 v6, v7, v6, vcc_lo
	v_cmp_gt_i32_e32 vcc_lo, 32, v10
	s_wait_alu 0xfffd
	v_cndmask_b32_e32 v7, v7, v10, vcc_lo
	s_delay_alu instid0(VALU_DEP_1)
	v_lshlrev_b32_e32 v7, 2, v7
	v_lshlrev_b32_e32 v6, 2, v6
	s_wait_dscnt 0x0
	v_add_f32_e32 v8, v8, v9
	ds_bpermute_b32 v9, v6, v8
	s_wait_dscnt 0x0
	v_dual_add_f32 v10, v8, v9 :: v_dual_and_b32 v9, 31, v0
	v_lshrrev_b32_e32 v8, 3, v0
	ds_bpermute_b32 v11, v7, v10
	v_cmp_eq_u32_e64 s3, 0, v9
	s_and_saveexec_b32 s4, s3
	s_cbranch_execz .LBB5_4
; %bb.3:
	s_wait_dscnt 0x0
	v_add_f32_e32 v10, v10, v11
	ds_store_b32 v8, v10
.LBB5_4:
	s_or_b32 exec_lo, exec_lo, s4
	s_wait_dscnt 0x0
	s_barrier_signal -1
	s_barrier_wait -1
	global_inv scope:SCOPE_SE
	s_load_b32 s4, s[0:1], 0x3c
	v_dual_mov_b32 v10, 0 :: v_dual_lshlrev_b32 v9, 2, v9
	s_wait_kmcnt 0x0
	s_bfe_u32 s4, s4, 0xb0005
	s_delay_alu instid0(SALU_CYCLE_1)
	v_cmp_gt_u32_e64 s4, s4, v0
	s_and_saveexec_b32 s5, s4
; %bb.5:
	ds_load_b32 v10, v9
; %bb.6:
	s_wait_alu 0xfffe
	s_or_b32 exec_lo, exec_lo, s5
	s_wait_dscnt 0x0
	ds_bpermute_b32 v11, v3, v10
	v_cmp_eq_u32_e64 s5, 0, v0
	s_cvt_f32_i32 s10, s9
	s_wait_dscnt 0x0
	v_add_f32_e32 v10, v10, v11
	ds_bpermute_b32 v11, v4, v10
	s_wait_dscnt 0x0
	v_add_f32_e32 v10, v10, v11
	ds_bpermute_b32 v11, v5, v10
	;; [unrolled: 3-line block ×4, first 2 shown]
	s_and_saveexec_b32 s11, s5
	s_cbranch_execz .LBB5_8
; %bb.7:
	s_wait_dscnt 0x0
	v_add_f32_e32 v10, v10, v11
	s_delay_alu instid0(VALU_DEP_1) | instskip(SKIP_1) | instid1(VALU_DEP_2)
	v_div_scale_f32 v11, null, s10, s10, v10
	v_div_scale_f32 v14, vcc_lo, v10, s10, v10
	v_rcp_f32_e32 v12, v11
	s_delay_alu instid0(TRANS32_DEP_1) | instskip(NEXT) | instid1(VALU_DEP_1)
	v_fma_f32 v13, -v11, v12, 1.0
	v_fmac_f32_e32 v12, v13, v12
	s_delay_alu instid0(VALU_DEP_1) | instskip(NEXT) | instid1(VALU_DEP_1)
	v_mul_f32_e32 v13, v14, v12
	v_fma_f32 v15, -v11, v13, v14
	s_delay_alu instid0(VALU_DEP_1) | instskip(NEXT) | instid1(VALU_DEP_1)
	v_fmac_f32_e32 v13, v15, v12
	v_fma_f32 v11, -v11, v13, v14
	s_wait_alu 0xfffd
	s_delay_alu instid0(VALU_DEP_1) | instskip(NEXT) | instid1(VALU_DEP_1)
	v_div_fmas_f32 v11, v11, v12, v13
	v_div_fixup_f32 v10, v11, s10, v10
	v_mov_b32_e32 v11, 0
	ds_store_b32 v11, v10 offset:132
.LBB5_8:
	s_or_b32 exec_lo, exec_lo, s11
	v_mov_b32_e32 v10, 0
	s_wait_loadcnt_dscnt 0x0
	s_barrier_signal -1
	s_barrier_wait -1
	global_inv scope:SCOPE_SE
	ds_load_b32 v11, v10 offset:132
	s_wait_dscnt 0x0
	v_sub_f32_e32 v11, v2, v11
	s_delay_alu instid0(VALU_DEP_1) | instskip(NEXT) | instid1(VALU_DEP_1)
	v_mul_f32_e32 v11, v11, v11
	v_cndmask_b32_e64 v11, 0, v11, s2
	ds_bpermute_b32 v12, v3, v11
	s_wait_dscnt 0x0
	v_add_f32_e32 v11, v11, v12
	ds_bpermute_b32 v12, v4, v11
	s_wait_dscnt 0x0
	v_add_f32_e32 v11, v11, v12
	;; [unrolled: 3-line block ×4, first 2 shown]
	ds_bpermute_b32 v12, v7, v11
	s_and_saveexec_b32 s11, s3
	s_cbranch_execz .LBB5_10
; %bb.9:
	s_wait_dscnt 0x0
	v_add_f32_e32 v11, v11, v12
	ds_store_b32 v8, v11
.LBB5_10:
	s_wait_alu 0xfffe
	s_or_b32 exec_lo, exec_lo, s11
	s_wait_loadcnt_dscnt 0x0
	s_barrier_signal -1
	s_barrier_wait -1
	global_inv scope:SCOPE_SE
	s_and_saveexec_b32 s3, s4
; %bb.11:
	ds_load_b32 v10, v9
; %bb.12:
	s_wait_alu 0xfffe
	s_or_b32 exec_lo, exec_lo, s3
	s_wait_dscnt 0x0
	ds_bpermute_b32 v3, v3, v10
	s_wait_dscnt 0x0
	v_add_f32_e32 v3, v10, v3
	ds_bpermute_b32 v4, v4, v3
	s_wait_dscnt 0x0
	v_add_f32_e32 v3, v3, v4
	;; [unrolled: 3-line block ×4, first 2 shown]
	ds_bpermute_b32 v4, v7, v3
	s_and_saveexec_b32 s3, s5
	s_cbranch_execz .LBB5_14
; %bb.13:
	s_wait_dscnt 0x0
	v_add_f32_e32 v3, v3, v4
	s_delay_alu instid0(VALU_DEP_1) | instskip(SKIP_1) | instid1(VALU_DEP_2)
	v_div_scale_f32 v4, null, s10, s10, v3
	v_div_scale_f32 v7, vcc_lo, v3, s10, v3
	v_rcp_f32_e32 v5, v4
	s_delay_alu instid0(TRANS32_DEP_1) | instskip(NEXT) | instid1(VALU_DEP_1)
	v_fma_f32 v6, -v4, v5, 1.0
	v_fmac_f32_e32 v5, v6, v5
	s_delay_alu instid0(VALU_DEP_1) | instskip(NEXT) | instid1(VALU_DEP_1)
	v_mul_f32_e32 v6, v7, v5
	v_fma_f32 v8, -v4, v6, v7
	s_delay_alu instid0(VALU_DEP_1) | instskip(NEXT) | instid1(VALU_DEP_1)
	v_fmac_f32_e32 v6, v8, v5
	v_fma_f32 v4, -v4, v6, v7
	s_wait_alu 0xfffd
	s_delay_alu instid0(VALU_DEP_1) | instskip(NEXT) | instid1(VALU_DEP_1)
	v_div_fmas_f32 v4, v4, v5, v6
	v_div_fixup_f32 v3, v4, s10, v3
	s_delay_alu instid0(VALU_DEP_1)
	v_dual_mov_b32 v4, 0 :: v_dual_add_f32 v3, s8, v3
	ds_store_b32 v4, v3 offset:128
.LBB5_14:
	s_wait_alu 0xfffe
	s_or_b32 exec_lo, exec_lo, s3
	s_wait_loadcnt_dscnt 0x0
	s_barrier_signal -1
	s_barrier_wait -1
	global_inv scope:SCOPE_SE
	s_and_saveexec_b32 s3, s2
	s_cbranch_execz .LBB5_16
; %bb.15:
	s_load_b128 s[0:3], s[0:1], 0x18
	v_mov_b32_e32 v7, 0
	s_wait_kmcnt 0x0
	s_clause 0x1
	global_load_b32 v5, v1, s[0:1]
	global_load_b32 v6, v1, s[2:3]
	ds_load_b64 v[3:4], v7 offset:128
	v_mad_co_u64_u32 v[0:1], null, s9, ttmp9, v[0:1]
	s_wait_dscnt 0x0
	v_readfirstlane_b32 s0, v3
	v_sub_f32_e32 v2, v2, v4
	s_cmp_lt_f32 s0, 0x800000
	s_mul_f32 s1, s0, 0x4b800000
	s_wait_alu 0xfffe
	s_delay_alu instid0(SALU_CYCLE_2) | instskip(SKIP_2) | instid1(TRANS32_DEP_1)
	s_cselect_b32 s0, s1, s0
	s_wait_alu 0xfffe
	v_s_rsq_f32 s0, s0
	s_mul_f32 s1, s0, 0x45800000
	s_wait_alu 0xfffe
	s_delay_alu instid0(SALU_CYCLE_2) | instskip(SKIP_2) | instid1(VALU_DEP_1)
	s_cselect_b32 s0, s1, s0
	s_wait_alu 0xfffe
	v_dual_mov_b32 v1, v7 :: v_dual_mul_f32 v2, s0, v2
	v_lshlrev_b64_e32 v[0:1], 2, v[0:1]
	s_delay_alu instid0(VALU_DEP_1) | instskip(SKIP_1) | instid1(VALU_DEP_2)
	v_add_co_u32 v0, vcc_lo, s6, v0
	s_wait_alu 0xfffd
	v_add_co_ci_u32_e64 v1, null, s7, v1, vcc_lo
	s_wait_loadcnt 0x0
	v_fmac_f32_e32 v6, v5, v2
	global_store_b32 v[0:1], v6, off
.LBB5_16:
	s_endpgm
	.section	.rodata,"a",@progbits
	.p2align	6, 0x0
	.amdhsa_kernel _Z28addBiasResidualPostLayerNormIfLi1ELi32EEvPT_PKS0_S3_S3_S3_fi
		.amdhsa_group_segment_fixed_size 136
		.amdhsa_private_segment_fixed_size 0
		.amdhsa_kernarg_size 304
		.amdhsa_user_sgpr_count 2
		.amdhsa_user_sgpr_dispatch_ptr 0
		.amdhsa_user_sgpr_queue_ptr 0
		.amdhsa_user_sgpr_kernarg_segment_ptr 1
		.amdhsa_user_sgpr_dispatch_id 0
		.amdhsa_user_sgpr_private_segment_size 0
		.amdhsa_wavefront_size32 1
		.amdhsa_uses_dynamic_stack 0
		.amdhsa_enable_private_segment 0
		.amdhsa_system_sgpr_workgroup_id_x 1
		.amdhsa_system_sgpr_workgroup_id_y 0
		.amdhsa_system_sgpr_workgroup_id_z 0
		.amdhsa_system_sgpr_workgroup_info 0
		.amdhsa_system_vgpr_workitem_id 0
		.amdhsa_next_free_vgpr 16
		.amdhsa_next_free_sgpr 16
		.amdhsa_reserve_vcc 1
		.amdhsa_float_round_mode_32 0
		.amdhsa_float_round_mode_16_64 0
		.amdhsa_float_denorm_mode_32 3
		.amdhsa_float_denorm_mode_16_64 3
		.amdhsa_fp16_overflow 0
		.amdhsa_workgroup_processor_mode 1
		.amdhsa_memory_ordered 1
		.amdhsa_forward_progress 1
		.amdhsa_inst_pref_size 11
		.amdhsa_round_robin_scheduling 0
		.amdhsa_exception_fp_ieee_invalid_op 0
		.amdhsa_exception_fp_denorm_src 0
		.amdhsa_exception_fp_ieee_div_zero 0
		.amdhsa_exception_fp_ieee_overflow 0
		.amdhsa_exception_fp_ieee_underflow 0
		.amdhsa_exception_fp_ieee_inexact 0
		.amdhsa_exception_int_div_zero 0
	.end_amdhsa_kernel
	.section	.text._Z28addBiasResidualPostLayerNormIfLi1ELi32EEvPT_PKS0_S3_S3_S3_fi,"axG",@progbits,_Z28addBiasResidualPostLayerNormIfLi1ELi32EEvPT_PKS0_S3_S3_S3_fi,comdat
.Lfunc_end5:
	.size	_Z28addBiasResidualPostLayerNormIfLi1ELi32EEvPT_PKS0_S3_S3_S3_fi, .Lfunc_end5-_Z28addBiasResidualPostLayerNormIfLi1ELi32EEvPT_PKS0_S3_S3_S3_fi
                                        ; -- End function
	.set _Z28addBiasResidualPostLayerNormIfLi1ELi32EEvPT_PKS0_S3_S3_S3_fi.num_vgpr, 16
	.set _Z28addBiasResidualPostLayerNormIfLi1ELi32EEvPT_PKS0_S3_S3_S3_fi.num_agpr, 0
	.set _Z28addBiasResidualPostLayerNormIfLi1ELi32EEvPT_PKS0_S3_S3_S3_fi.numbered_sgpr, 16
	.set _Z28addBiasResidualPostLayerNormIfLi1ELi32EEvPT_PKS0_S3_S3_S3_fi.num_named_barrier, 0
	.set _Z28addBiasResidualPostLayerNormIfLi1ELi32EEvPT_PKS0_S3_S3_S3_fi.private_seg_size, 0
	.set _Z28addBiasResidualPostLayerNormIfLi1ELi32EEvPT_PKS0_S3_S3_S3_fi.uses_vcc, 1
	.set _Z28addBiasResidualPostLayerNormIfLi1ELi32EEvPT_PKS0_S3_S3_S3_fi.uses_flat_scratch, 0
	.set _Z28addBiasResidualPostLayerNormIfLi1ELi32EEvPT_PKS0_S3_S3_S3_fi.has_dyn_sized_stack, 0
	.set _Z28addBiasResidualPostLayerNormIfLi1ELi32EEvPT_PKS0_S3_S3_S3_fi.has_recursion, 0
	.set _Z28addBiasResidualPostLayerNormIfLi1ELi32EEvPT_PKS0_S3_S3_S3_fi.has_indirect_call, 0
	.section	.AMDGPU.csdata,"",@progbits
; Kernel info:
; codeLenInByte = 1376
; TotalNumSgprs: 18
; NumVgprs: 16
; ScratchSize: 0
; MemoryBound: 0
; FloatMode: 240
; IeeeMode: 1
; LDSByteSize: 136 bytes/workgroup (compile time only)
; SGPRBlocks: 0
; VGPRBlocks: 1
; NumSGPRsForWavesPerEU: 18
; NumVGPRsForWavesPerEU: 16
; Occupancy: 16
; WaveLimiterHint : 0
; COMPUTE_PGM_RSRC2:SCRATCH_EN: 0
; COMPUTE_PGM_RSRC2:USER_SGPR: 2
; COMPUTE_PGM_RSRC2:TRAP_HANDLER: 0
; COMPUTE_PGM_RSRC2:TGID_X_EN: 1
; COMPUTE_PGM_RSRC2:TGID_Y_EN: 0
; COMPUTE_PGM_RSRC2:TGID_Z_EN: 0
; COMPUTE_PGM_RSRC2:TIDIG_COMP_CNT: 0
	.section	.text._Z28addBiasResidualPostLayerNormIfLi2ELi32EEvPT_PKS0_S3_S3_S3_fi,"axG",@progbits,_Z28addBiasResidualPostLayerNormIfLi2ELi32EEvPT_PKS0_S3_S3_S3_fi,comdat
	.protected	_Z28addBiasResidualPostLayerNormIfLi2ELi32EEvPT_PKS0_S3_S3_S3_fi ; -- Begin function _Z28addBiasResidualPostLayerNormIfLi2ELi32EEvPT_PKS0_S3_S3_S3_fi
	.globl	_Z28addBiasResidualPostLayerNormIfLi2ELi32EEvPT_PKS0_S3_S3_S3_fi
	.p2align	8
	.type	_Z28addBiasResidualPostLayerNormIfLi2ELi32EEvPT_PKS0_S3_S3_S3_fi,@function
_Z28addBiasResidualPostLayerNormIfLi2ELi32EEvPT_PKS0_S3_S3_S3_fi: ; @_Z28addBiasResidualPostLayerNormIfLi2ELi32EEvPT_PKS0_S3_S3_S3_fi
; %bb.0:
	s_clause 0x1
	s_load_b64 s[10:11], s[0:1], 0x28
	s_load_b64 s[8:9], s[0:1], 0x0
	v_dual_mov_b32 v6, 0 :: v_dual_mov_b32 v3, 0
	s_delay_alu instid0(VALU_DEP_1)
	v_dual_mov_b32 v2, v6 :: v_dual_lshlrev_b32 v7, 2, v0
	s_wait_kmcnt 0x0
	s_mul_i32 s12, s11, ttmp9
	v_cmp_gt_i32_e64 s2, s11, v0
	v_add_nc_u32_e32 v1, s12, v0
	s_and_saveexec_b32 s3, s2
	s_cbranch_execz .LBB6_4
; %bb.1:
	s_clause 0x1
	s_load_b128 s[4:7], s[0:1], 0x8
	s_load_b32 s13, s[0:1], 0x3c
	v_mov_b32_e32 v2, 0
	s_delay_alu instid0(VALU_DEP_1) | instskip(NEXT) | instid1(VALU_DEP_1)
	v_lshlrev_b64_e32 v[3:4], 2, v[1:2]
	v_add_co_u32 v5, vcc_lo, s8, v3
	s_delay_alu instid0(VALU_DEP_1)
	v_add_co_ci_u32_e64 v6, null, s9, v4, vcc_lo
	s_wait_kmcnt 0x0
	v_add_co_u32 v3, vcc_lo, s4, v3
	s_wait_alu 0xfffd
	v_add_co_ci_u32_e64 v4, null, s5, v4, vcc_lo
	s_and_b32 s14, s13, 0xffff
	s_mov_b32 s13, exec_lo
	global_load_b32 v5, v[5:6], off
	global_load_b32 v3, v[3:4], off
	global_load_b32 v4, v7, s[6:7]
	s_wait_loadcnt 0x1
	v_add_f32_e32 v3, v5, v3
	s_wait_loadcnt 0x0
	s_delay_alu instid0(VALU_DEP_1) | instskip(SKIP_1) | instid1(VALU_DEP_2)
	v_add_f32_e32 v3, v3, v4
	v_add_nc_u32_e32 v4, s14, v0
	v_add_f32_e32 v6, 0, v3
	s_delay_alu instid0(VALU_DEP_2)
	v_cmpx_gt_u32_e64 s11, v4
	s_cbranch_execz .LBB6_3
; %bb.2:
	v_dual_mov_b32 v5, 0 :: v_dual_add_nc_u32 v4, s12, v4
	s_delay_alu instid0(VALU_DEP_1) | instskip(NEXT) | instid1(VALU_DEP_1)
	v_lshlrev_b64_e32 v[4:5], 2, v[4:5]
	v_add_co_u32 v8, vcc_lo, s8, v4
	s_wait_alu 0xfffd
	s_delay_alu instid0(VALU_DEP_2)
	v_add_co_ci_u32_e64 v9, null, s9, v5, vcc_lo
	v_add_co_u32 v4, vcc_lo, s4, v4
	v_add_co_u32 v2, s4, s6, v7
	s_wait_alu 0xfffd
	v_add_co_ci_u32_e64 v5, null, s5, v5, vcc_lo
	s_wait_alu 0xf1ff
	v_add_co_ci_u32_e64 v10, null, s7, 0, s4
	s_lshl_b32 s4, s14, 2
	global_load_b32 v8, v[8:9], off
	global_load_b32 v9, v[4:5], off
	s_wait_alu 0xfffe
	v_add_co_u32 v4, vcc_lo, v2, s4
	s_wait_alu 0xfffd
	v_add_co_ci_u32_e64 v5, null, 0, v10, vcc_lo
	global_load_b32 v2, v[4:5], off
	s_wait_loadcnt 0x1
	v_add_f32_e32 v4, v8, v9
	s_wait_loadcnt 0x0
	s_delay_alu instid0(VALU_DEP_1) | instskip(NEXT) | instid1(VALU_DEP_1)
	v_add_f32_e32 v2, v4, v2
	v_add_f32_e32 v6, v6, v2
.LBB6_3:
	s_wait_alu 0xfffe
	s_or_b32 exec_lo, exec_lo, s13
.LBB6_4:
	s_delay_alu instid0(SALU_CYCLE_1) | instskip(SKIP_1) | instid1(VALU_DEP_1)
	s_or_b32 exec_lo, exec_lo, s3
	v_mbcnt_lo_u32_b32 v9, -1, 0
	v_xor_b32_e32 v4, 16, v9
	v_xor_b32_e32 v5, 8, v9
	;; [unrolled: 1-line block ×3, first 2 shown]
	s_delay_alu instid0(VALU_DEP_3)
	v_cmp_gt_i32_e32 vcc_lo, 32, v4
	s_wait_alu 0xfffd
	v_cndmask_b32_e32 v4, v9, v4, vcc_lo
	v_cmp_gt_i32_e32 vcc_lo, 32, v5
	s_wait_alu 0xfffd
	v_cndmask_b32_e32 v5, v9, v5, vcc_lo
	s_delay_alu instid0(VALU_DEP_1)
	v_lshlrev_b32_e32 v5, 2, v5
	v_lshlrev_b32_e32 v4, 2, v4
	ds_bpermute_b32 v8, v4, v6
	s_wait_dscnt 0x0
	v_add_f32_e32 v8, v6, v8
	v_xor_b32_e32 v6, 4, v9
	ds_bpermute_b32 v10, v5, v8
	v_cmp_gt_i32_e32 vcc_lo, 32, v6
	s_wait_alu 0xfffd
	v_cndmask_b32_e32 v6, v9, v6, vcc_lo
	s_wait_dscnt 0x0
	v_add_f32_e32 v10, v8, v10
	v_xor_b32_e32 v8, 2, v9
	s_delay_alu instid0(VALU_DEP_1) | instskip(SKIP_3) | instid1(VALU_DEP_2)
	v_cmp_gt_i32_e32 vcc_lo, 32, v8
	s_wait_alu 0xfffd
	v_cndmask_b32_e32 v8, v9, v8, vcc_lo
	v_cmp_gt_i32_e32 vcc_lo, 32, v12
	v_lshlrev_b32_e32 v8, 2, v8
	s_wait_alu 0xfffd
	v_cndmask_b32_e32 v9, v9, v12, vcc_lo
	s_delay_alu instid0(VALU_DEP_1)
	v_lshlrev_b32_e32 v9, 2, v9
	v_lshlrev_b32_e32 v6, 2, v6
	ds_bpermute_b32 v11, v6, v10
	s_wait_dscnt 0x0
	v_add_f32_e32 v10, v10, v11
	ds_bpermute_b32 v11, v8, v10
	s_wait_dscnt 0x0
	v_dual_add_f32 v12, v10, v11 :: v_dual_and_b32 v11, 31, v0
	v_lshrrev_b32_e32 v10, 3, v0
	ds_bpermute_b32 v13, v9, v12
	v_cmp_eq_u32_e64 s3, 0, v11
	s_and_saveexec_b32 s4, s3
	s_cbranch_execz .LBB6_6
; %bb.5:
	s_wait_dscnt 0x0
	v_add_f32_e32 v12, v12, v13
	ds_store_b32 v10, v12
.LBB6_6:
	s_wait_alu 0xfffe
	s_or_b32 exec_lo, exec_lo, s4
	s_wait_dscnt 0x0
	s_barrier_signal -1
	s_barrier_wait -1
	global_inv scope:SCOPE_SE
	s_load_b32 s6, s[0:1], 0x3c
	v_dual_mov_b32 v12, 0 :: v_dual_lshlrev_b32 v11, 2, v11
	s_wait_kmcnt 0x0
	s_bfe_u32 s4, s6, 0xb0005
	s_wait_alu 0xfffe
	v_cmp_gt_u32_e64 s4, s4, v0
	s_and_saveexec_b32 s5, s4
; %bb.7:
	ds_load_b32 v12, v11
; %bb.8:
	s_wait_alu 0xfffe
	s_or_b32 exec_lo, exec_lo, s5
	s_wait_dscnt 0x0
	ds_bpermute_b32 v13, v4, v12
	v_cmp_eq_u32_e64 s5, 0, v0
	s_cvt_f32_i32 s7, s11
	s_wait_dscnt 0x0
	v_add_f32_e32 v12, v12, v13
	ds_bpermute_b32 v13, v5, v12
	s_wait_dscnt 0x0
	v_add_f32_e32 v12, v12, v13
	ds_bpermute_b32 v13, v6, v12
	;; [unrolled: 3-line block ×4, first 2 shown]
	s_and_saveexec_b32 s13, s5
	s_cbranch_execz .LBB6_10
; %bb.9:
	s_wait_dscnt 0x0
	v_add_f32_e32 v12, v12, v13
	s_wait_alu 0xfffe
	s_delay_alu instid0(VALU_DEP_1) | instskip(SKIP_1) | instid1(VALU_DEP_2)
	v_div_scale_f32 v13, null, s7, s7, v12
	v_div_scale_f32 v16, vcc_lo, v12, s7, v12
	v_rcp_f32_e32 v14, v13
	s_delay_alu instid0(TRANS32_DEP_1) | instskip(NEXT) | instid1(VALU_DEP_1)
	v_fma_f32 v15, -v13, v14, 1.0
	v_fmac_f32_e32 v14, v15, v14
	s_delay_alu instid0(VALU_DEP_1) | instskip(NEXT) | instid1(VALU_DEP_1)
	v_mul_f32_e32 v15, v16, v14
	v_fma_f32 v17, -v13, v15, v16
	s_delay_alu instid0(VALU_DEP_1) | instskip(NEXT) | instid1(VALU_DEP_1)
	v_fmac_f32_e32 v15, v17, v14
	v_fma_f32 v13, -v13, v15, v16
	s_wait_alu 0xfffd
	s_delay_alu instid0(VALU_DEP_1) | instskip(NEXT) | instid1(VALU_DEP_1)
	v_div_fmas_f32 v13, v13, v14, v15
	v_div_fixup_f32 v12, v13, s7, v12
	v_mov_b32_e32 v13, 0
	ds_store_b32 v13, v12 offset:132
.LBB6_10:
	s_wait_alu 0xfffe
	s_or_b32 exec_lo, exec_lo, s13
	s_and_b32 s6, 0xffff, s6
	v_mov_b32_e32 v12, 0
	s_wait_alu 0xfffe
	v_add_nc_u32_e32 v0, s6, v0
	s_wait_loadcnt_dscnt 0x0
	s_barrier_signal -1
	s_barrier_wait -1
	global_inv scope:SCOPE_SE
	s_and_saveexec_b32 s13, s2
	s_cbranch_execz .LBB6_12
; %bb.11:
	v_mov_b32_e32 v12, 0
	v_cmp_gt_u32_e32 vcc_lo, s11, v0
	ds_load_b32 v12, v12 offset:132
	s_wait_dscnt 0x0
	v_sub_f32_e32 v13, v3, v12
	s_delay_alu instid0(VALU_DEP_1) | instskip(NEXT) | instid1(VALU_DEP_1)
	v_dual_sub_f32 v12, v2, v12 :: v_dual_mul_f32 v13, v13, v13
	v_fma_f32 v12, v12, v12, v13
	s_wait_alu 0xfffd
	s_delay_alu instid0(VALU_DEP_1)
	v_cndmask_b32_e32 v12, v13, v12, vcc_lo
.LBB6_12:
	s_wait_alu 0xfffe
	s_or_b32 exec_lo, exec_lo, s13
	ds_bpermute_b32 v13, v4, v12
	s_wait_dscnt 0x0
	v_add_f32_e32 v12, v12, v13
	ds_bpermute_b32 v13, v5, v12
	s_wait_dscnt 0x0
	v_add_f32_e32 v12, v12, v13
	;; [unrolled: 3-line block ×4, first 2 shown]
	ds_bpermute_b32 v13, v9, v12
	s_and_saveexec_b32 s13, s3
	s_cbranch_execz .LBB6_14
; %bb.13:
	s_wait_dscnt 0x0
	v_add_f32_e32 v12, v12, v13
	ds_store_b32 v10, v12
.LBB6_14:
	s_wait_alu 0xfffe
	s_or_b32 exec_lo, exec_lo, s13
	v_mov_b32_e32 v10, 0
	s_wait_loadcnt_dscnt 0x0
	s_barrier_signal -1
	s_barrier_wait -1
	global_inv scope:SCOPE_SE
	s_and_saveexec_b32 s3, s4
; %bb.15:
	ds_load_b32 v10, v11
; %bb.16:
	s_or_b32 exec_lo, exec_lo, s3
	s_wait_dscnt 0x0
	ds_bpermute_b32 v4, v4, v10
	s_wait_dscnt 0x0
	v_add_f32_e32 v4, v10, v4
	ds_bpermute_b32 v5, v5, v4
	s_wait_dscnt 0x0
	v_add_f32_e32 v4, v4, v5
	;; [unrolled: 3-line block ×4, first 2 shown]
	ds_bpermute_b32 v5, v9, v4
	s_and_saveexec_b32 s3, s5
	s_cbranch_execz .LBB6_18
; %bb.17:
	s_wait_dscnt 0x0
	v_add_f32_e32 v4, v4, v5
	s_delay_alu instid0(VALU_DEP_1) | instskip(SKIP_1) | instid1(VALU_DEP_2)
	v_div_scale_f32 v5, null, s7, s7, v4
	v_div_scale_f32 v9, vcc_lo, v4, s7, v4
	v_rcp_f32_e32 v6, v5
	s_delay_alu instid0(TRANS32_DEP_1) | instskip(NEXT) | instid1(VALU_DEP_1)
	v_fma_f32 v8, -v5, v6, 1.0
	v_fmac_f32_e32 v6, v8, v6
	s_delay_alu instid0(VALU_DEP_1) | instskip(NEXT) | instid1(VALU_DEP_1)
	v_mul_f32_e32 v8, v9, v6
	v_fma_f32 v10, -v5, v8, v9
	s_delay_alu instid0(VALU_DEP_1) | instskip(NEXT) | instid1(VALU_DEP_1)
	v_fmac_f32_e32 v8, v10, v6
	v_fma_f32 v5, -v5, v8, v9
	s_wait_alu 0xfffd
	s_delay_alu instid0(VALU_DEP_1) | instskip(NEXT) | instid1(VALU_DEP_1)
	v_div_fmas_f32 v5, v5, v6, v8
	v_div_fixup_f32 v4, v5, s7, v4
	s_delay_alu instid0(VALU_DEP_1)
	v_dual_mov_b32 v5, 0 :: v_dual_add_f32 v4, s10, v4
	ds_store_b32 v5, v4 offset:128
.LBB6_18:
	s_or_b32 exec_lo, exec_lo, s3
	s_wait_loadcnt_dscnt 0x0
	s_barrier_signal -1
	s_barrier_wait -1
	global_inv scope:SCOPE_SE
	s_and_saveexec_b32 s3, s2
	s_cbranch_execz .LBB6_21
; %bb.19:
	s_load_b128 s[0:3], s[0:1], 0x18
	v_mov_b32_e32 v4, 0
	s_wait_kmcnt 0x0
	s_clause 0x1
	global_load_b32 v10, v7, s[0:1]
	global_load_b32 v11, v7, s[2:3]
	ds_load_b64 v[5:6], v4 offset:128
	s_wait_dscnt 0x0
	v_readfirstlane_b32 s4, v5
	v_sub_f32_e32 v5, v3, v6
	v_mov_b32_e32 v3, v1
	s_cmp_lt_f32 s4, 0x800000
	s_mul_f32 s5, s4, 0x4b800000
	s_delay_alu instid0(VALU_DEP_1) | instskip(SKIP_1) | instid1(SALU_CYCLE_1)
	v_lshlrev_b64_e32 v[8:9], 2, v[3:4]
	s_wait_alu 0xfffe
	s_cselect_b32 s4, s5, s4
	s_wait_alu 0xfffe
	v_s_rsq_f32 s4, s4
	s_delay_alu instid0(VALU_DEP_1) | instskip(SKIP_3) | instid1(TRANS32_DEP_1)
	v_add_co_u32 v8, vcc_lo, s8, v8
	s_wait_alu 0xfffd
	v_add_co_ci_u32_e64 v9, null, s9, v9, vcc_lo
	v_cmp_gt_u32_e32 vcc_lo, s11, v0
	s_mul_f32 s5, s4, 0x45800000
	s_wait_alu 0xfffe
	s_delay_alu instid0(SALU_CYCLE_2) | instskip(SKIP_3) | instid1(VALU_DEP_1)
	s_cselect_b32 s4, s5, s4
	s_wait_alu 0xfffe
	v_mul_f32_e32 v1, s4, v5
	s_wait_loadcnt 0x0
	v_fmac_f32_e32 v11, v10, v1
	global_store_b32 v[8:9], v11, off
	s_and_b32 exec_lo, exec_lo, vcc_lo
	s_cbranch_execz .LBB6_21
; %bb.20:
	v_add_co_u32 v1, s0, s0, v7
	s_wait_alu 0xf1ff
	v_add_co_ci_u32_e64 v3, null, s1, 0, s0
	v_add_co_u32 v5, s0, s2, v7
	s_wait_alu 0xf1ff
	v_add_co_ci_u32_e64 v10, null, s3, 0, s0
	s_lshl_b32 s0, s6, 2
	s_wait_alu 0xfffe
	v_add_co_u32 v7, vcc_lo, v1, s0
	s_wait_alu 0xfffd
	v_add_co_ci_u32_e64 v8, null, 0, v3, vcc_lo
	v_add_co_u32 v9, vcc_lo, v5, s0
	s_wait_alu 0xfffd
	v_add_co_ci_u32_e64 v10, null, 0, v10, vcc_lo
	global_load_b32 v5, v[7:8], off
	global_load_b32 v7, v[9:10], off
	v_sub_f32_e32 v1, v2, v6
	s_delay_alu instid0(VALU_DEP_1) | instskip(NEXT) | instid1(VALU_DEP_1)
	v_dual_mul_f32 v2, s4, v1 :: v_dual_add_nc_u32 v3, s12, v0
	v_lshlrev_b64_e32 v[0:1], 2, v[3:4]
	s_delay_alu instid0(VALU_DEP_1) | instskip(SKIP_1) | instid1(VALU_DEP_2)
	v_add_co_u32 v0, vcc_lo, s8, v0
	s_wait_alu 0xfffd
	v_add_co_ci_u32_e64 v1, null, s9, v1, vcc_lo
	s_wait_loadcnt 0x0
	v_fmac_f32_e32 v7, v5, v2
	global_store_b32 v[0:1], v7, off
.LBB6_21:
	s_endpgm
	.section	.rodata,"a",@progbits
	.p2align	6, 0x0
	.amdhsa_kernel _Z28addBiasResidualPostLayerNormIfLi2ELi32EEvPT_PKS0_S3_S3_S3_fi
		.amdhsa_group_segment_fixed_size 136
		.amdhsa_private_segment_fixed_size 0
		.amdhsa_kernarg_size 304
		.amdhsa_user_sgpr_count 2
		.amdhsa_user_sgpr_dispatch_ptr 0
		.amdhsa_user_sgpr_queue_ptr 0
		.amdhsa_user_sgpr_kernarg_segment_ptr 1
		.amdhsa_user_sgpr_dispatch_id 0
		.amdhsa_user_sgpr_private_segment_size 0
		.amdhsa_wavefront_size32 1
		.amdhsa_uses_dynamic_stack 0
		.amdhsa_enable_private_segment 0
		.amdhsa_system_sgpr_workgroup_id_x 1
		.amdhsa_system_sgpr_workgroup_id_y 0
		.amdhsa_system_sgpr_workgroup_id_z 0
		.amdhsa_system_sgpr_workgroup_info 0
		.amdhsa_system_vgpr_workitem_id 0
		.amdhsa_next_free_vgpr 18
		.amdhsa_next_free_sgpr 15
		.amdhsa_reserve_vcc 1
		.amdhsa_float_round_mode_32 0
		.amdhsa_float_round_mode_16_64 0
		.amdhsa_float_denorm_mode_32 3
		.amdhsa_float_denorm_mode_16_64 3
		.amdhsa_fp16_overflow 0
		.amdhsa_workgroup_processor_mode 1
		.amdhsa_memory_ordered 1
		.amdhsa_forward_progress 1
		.amdhsa_inst_pref_size 15
		.amdhsa_round_robin_scheduling 0
		.amdhsa_exception_fp_ieee_invalid_op 0
		.amdhsa_exception_fp_denorm_src 0
		.amdhsa_exception_fp_ieee_div_zero 0
		.amdhsa_exception_fp_ieee_overflow 0
		.amdhsa_exception_fp_ieee_underflow 0
		.amdhsa_exception_fp_ieee_inexact 0
		.amdhsa_exception_int_div_zero 0
	.end_amdhsa_kernel
	.section	.text._Z28addBiasResidualPostLayerNormIfLi2ELi32EEvPT_PKS0_S3_S3_S3_fi,"axG",@progbits,_Z28addBiasResidualPostLayerNormIfLi2ELi32EEvPT_PKS0_S3_S3_S3_fi,comdat
.Lfunc_end6:
	.size	_Z28addBiasResidualPostLayerNormIfLi2ELi32EEvPT_PKS0_S3_S3_S3_fi, .Lfunc_end6-_Z28addBiasResidualPostLayerNormIfLi2ELi32EEvPT_PKS0_S3_S3_S3_fi
                                        ; -- End function
	.set _Z28addBiasResidualPostLayerNormIfLi2ELi32EEvPT_PKS0_S3_S3_S3_fi.num_vgpr, 18
	.set _Z28addBiasResidualPostLayerNormIfLi2ELi32EEvPT_PKS0_S3_S3_S3_fi.num_agpr, 0
	.set _Z28addBiasResidualPostLayerNormIfLi2ELi32EEvPT_PKS0_S3_S3_S3_fi.numbered_sgpr, 15
	.set _Z28addBiasResidualPostLayerNormIfLi2ELi32EEvPT_PKS0_S3_S3_S3_fi.num_named_barrier, 0
	.set _Z28addBiasResidualPostLayerNormIfLi2ELi32EEvPT_PKS0_S3_S3_S3_fi.private_seg_size, 0
	.set _Z28addBiasResidualPostLayerNormIfLi2ELi32EEvPT_PKS0_S3_S3_S3_fi.uses_vcc, 1
	.set _Z28addBiasResidualPostLayerNormIfLi2ELi32EEvPT_PKS0_S3_S3_S3_fi.uses_flat_scratch, 0
	.set _Z28addBiasResidualPostLayerNormIfLi2ELi32EEvPT_PKS0_S3_S3_S3_fi.has_dyn_sized_stack, 0
	.set _Z28addBiasResidualPostLayerNormIfLi2ELi32EEvPT_PKS0_S3_S3_S3_fi.has_recursion, 0
	.set _Z28addBiasResidualPostLayerNormIfLi2ELi32EEvPT_PKS0_S3_S3_S3_fi.has_indirect_call, 0
	.section	.AMDGPU.csdata,"",@progbits
; Kernel info:
; codeLenInByte = 1856
; TotalNumSgprs: 17
; NumVgprs: 18
; ScratchSize: 0
; MemoryBound: 0
; FloatMode: 240
; IeeeMode: 1
; LDSByteSize: 136 bytes/workgroup (compile time only)
; SGPRBlocks: 0
; VGPRBlocks: 2
; NumSGPRsForWavesPerEU: 17
; NumVGPRsForWavesPerEU: 18
; Occupancy: 16
; WaveLimiterHint : 0
; COMPUTE_PGM_RSRC2:SCRATCH_EN: 0
; COMPUTE_PGM_RSRC2:USER_SGPR: 2
; COMPUTE_PGM_RSRC2:TRAP_HANDLER: 0
; COMPUTE_PGM_RSRC2:TGID_X_EN: 1
; COMPUTE_PGM_RSRC2:TGID_Y_EN: 0
; COMPUTE_PGM_RSRC2:TGID_Z_EN: 0
; COMPUTE_PGM_RSRC2:TIDIG_COMP_CNT: 0
	.section	.text._Z35generalAddBiasResidualPostLayerNormIfLi32EEvPT_PKS0_S3_S3_S3_fi,"axG",@progbits,_Z35generalAddBiasResidualPostLayerNormIfLi32EEvPT_PKS0_S3_S3_S3_fi,comdat
	.protected	_Z35generalAddBiasResidualPostLayerNormIfLi32EEvPT_PKS0_S3_S3_S3_fi ; -- Begin function _Z35generalAddBiasResidualPostLayerNormIfLi32EEvPT_PKS0_S3_S3_S3_fi
	.globl	_Z35generalAddBiasResidualPostLayerNormIfLi32EEvPT_PKS0_S3_S3_S3_fi
	.p2align	8
	.type	_Z35generalAddBiasResidualPostLayerNormIfLi32EEvPT_PKS0_S3_S3_S3_fi,@function
_Z35generalAddBiasResidualPostLayerNormIfLi32EEvPT_PKS0_S3_S3_S3_fi: ; @_Z35generalAddBiasResidualPostLayerNormIfLi32EEvPT_PKS0_S3_S3_S3_fi
; %bb.0:
	s_clause 0x2
	s_load_b64 s[14:15], s[0:1], 0x28
	s_load_b64 s[12:13], s[0:1], 0x0
	s_load_b128 s[4:7], s[0:1], 0x18
	v_mov_b32_e32 v3, 0
	s_wait_kmcnt 0x0
	s_lshr_b32 s2, s15, 31
	s_mul_i32 s17, s15, ttmp9
	s_add_co_i32 s2, s15, s2
	s_delay_alu instid0(SALU_CYCLE_1) | instskip(NEXT) | instid1(SALU_CYCLE_1)
	s_ashr_i32 s16, s2, 1
	v_cmp_gt_i32_e64 s2, s16, v0
	s_and_saveexec_b32 s18, s2
	s_cbranch_execz .LBB7_4
; %bb.1:
	s_clause 0x1
	s_load_b128 s[8:11], s[0:1], 0x8
	s_load_b32 s3, s[0:1], 0x3c
	v_dual_mov_b32 v4, v0 :: v_dual_lshlrev_b32 v1, 3, v0
	v_mov_b32_e32 v3, 0
	s_lshr_b32 s19, s17, 1
	s_wait_kmcnt 0x0
	s_delay_alu instid0(VALU_DEP_2) | instskip(SKIP_4) | instid1(VALU_DEP_1)
	v_add_co_u32 v1, s10, s10, v1
	s_wait_alu 0xf1ff
	v_add_co_ci_u32_e64 v2, null, s11, 0, s10
	s_and_b32 s11, s3, 0xffff
	v_add_co_u32 v1, vcc_lo, v1, 4
	v_add_co_ci_u32_e64 v2, null, 0, v2, vcc_lo
	s_mov_b32 s10, 0
	s_wait_alu 0xfffe
	s_lshl_b32 s20, s11, 3
.LBB7_2:                                ; =>This Inner Loop Header: Depth=1
	v_add_nc_u32_e32 v5, s19, v4
	v_add_nc_u32_e32 v4, s11, v4
	s_delay_alu instid0(VALU_DEP_2) | instskip(NEXT) | instid1(VALU_DEP_2)
	v_ashrrev_i32_e32 v6, 31, v5
	v_cmp_le_i32_e64 s3, s16, v4
	s_delay_alu instid0(VALU_DEP_2) | instskip(SKIP_1) | instid1(VALU_DEP_1)
	v_lshlrev_b64_e32 v[5:6], 3, v[5:6]
	s_or_b32 s10, s3, s10
	v_add_co_u32 v7, vcc_lo, s12, v5
	s_wait_alu 0xfffd
	s_delay_alu instid0(VALU_DEP_2)
	v_add_co_ci_u32_e64 v8, null, s13, v6, vcc_lo
	v_add_co_u32 v5, vcc_lo, s8, v5
	s_wait_alu 0xfffd
	v_add_co_ci_u32_e64 v6, null, s9, v6, vcc_lo
	global_load_b64 v[9:10], v[7:8], off
	global_load_b64 v[5:6], v[5:6], off
	global_load_b64 v[11:12], v[1:2], off offset:-4
	v_add_co_u32 v1, vcc_lo, v1, s20
	s_wait_alu 0xfffd
	v_add_co_ci_u32_e64 v2, null, 0, v2, vcc_lo
	s_wait_loadcnt 0x1
	v_dual_add_f32 v5, v9, v5 :: v_dual_add_f32 v6, v10, v6
	s_wait_loadcnt 0x0
	s_delay_alu instid0(VALU_DEP_1) | instskip(NEXT) | instid1(VALU_DEP_1)
	v_dual_add_f32 v5, v5, v11 :: v_dual_add_f32 v6, v6, v12
	v_add_f32_e32 v3, v3, v5
	global_store_b64 v[7:8], v[5:6], off
	v_add_f32_e32 v3, v3, v6
	s_wait_alu 0xfffe
	s_and_not1_b32 exec_lo, exec_lo, s10
	s_cbranch_execnz .LBB7_2
; %bb.3:
	s_or_b32 exec_lo, exec_lo, s10
.LBB7_4:
	s_delay_alu instid0(SALU_CYCLE_1) | instskip(SKIP_1) | instid1(VALU_DEP_1)
	s_or_b32 exec_lo, exec_lo, s18
	v_mbcnt_lo_u32_b32 v5, -1, 0
	v_xor_b32_e32 v1, 16, v5
	v_xor_b32_e32 v2, 8, v5
	;; [unrolled: 1-line block ×3, first 2 shown]
	s_delay_alu instid0(VALU_DEP_3)
	v_cmp_gt_i32_e32 vcc_lo, 32, v1
	s_wait_alu 0xfffd
	v_cndmask_b32_e32 v1, v5, v1, vcc_lo
	v_cmp_gt_i32_e32 vcc_lo, 32, v2
	s_wait_alu 0xfffd
	v_cndmask_b32_e32 v2, v5, v2, vcc_lo
	s_delay_alu instid0(VALU_DEP_1)
	v_lshlrev_b32_e32 v2, 2, v2
	v_lshlrev_b32_e32 v1, 2, v1
	ds_bpermute_b32 v4, v1, v3
	s_wait_dscnt 0x0
	v_add_f32_e32 v4, v3, v4
	v_xor_b32_e32 v3, 4, v5
	ds_bpermute_b32 v6, v2, v4
	v_cmp_gt_i32_e32 vcc_lo, 32, v3
	s_wait_dscnt 0x0
	s_wait_alu 0xfffd
	v_dual_cndmask_b32 v3, v5, v3 :: v_dual_add_f32 v6, v4, v6
	s_delay_alu instid0(VALU_DEP_1)
	v_lshlrev_b32_e32 v3, 2, v3
	v_xor_b32_e32 v4, 2, v5
	ds_bpermute_b32 v7, v3, v6
	v_cmp_gt_i32_e32 vcc_lo, 32, v4
	s_wait_alu 0xfffd
	v_cndmask_b32_e32 v4, v5, v4, vcc_lo
	v_cmp_gt_i32_e32 vcc_lo, 32, v8
	s_wait_alu 0xfffd
	v_cndmask_b32_e32 v5, v5, v8, vcc_lo
	s_delay_alu instid0(VALU_DEP_1)
	v_lshlrev_b32_e32 v5, 2, v5
	v_lshlrev_b32_e32 v4, 2, v4
	s_wait_dscnt 0x0
	v_add_f32_e32 v6, v6, v7
	ds_bpermute_b32 v7, v4, v6
	s_wait_dscnt 0x0
	v_dual_add_f32 v8, v6, v7 :: v_dual_and_b32 v7, 31, v0
	v_lshrrev_b32_e32 v6, 3, v0
	ds_bpermute_b32 v9, v5, v8
	v_cmp_eq_u32_e64 s3, 0, v7
	s_and_saveexec_b32 s8, s3
	s_cbranch_execz .LBB7_6
; %bb.5:
	s_wait_dscnt 0x0
	v_add_f32_e32 v8, v8, v9
	ds_store_b32 v6, v8
.LBB7_6:
	s_wait_alu 0xfffe
	s_or_b32 exec_lo, exec_lo, s8
	s_wait_storecnt_dscnt 0x0
	s_barrier_signal -1
	s_barrier_wait -1
	global_inv scope:SCOPE_SE
	s_load_b32 s8, s[0:1], 0x3c
	v_dual_mov_b32 v8, 0 :: v_dual_lshlrev_b32 v7, 2, v7
	s_wait_kmcnt 0x0
	s_bfe_u32 s0, s8, 0xb0005
	s_delay_alu instid0(SALU_CYCLE_1)
	v_cmp_gt_u32_e64 s0, s0, v0
	s_and_saveexec_b32 s1, s0
; %bb.7:
	ds_load_b32 v8, v7
; %bb.8:
	s_wait_alu 0xfffe
	s_or_b32 exec_lo, exec_lo, s1
	s_wait_dscnt 0x0
	ds_bpermute_b32 v9, v1, v8
	v_cmp_eq_u32_e64 s1, 0, v0
	s_cvt_f32_i32 s9, s15
	s_wait_dscnt 0x0
	v_add_f32_e32 v8, v8, v9
	ds_bpermute_b32 v9, v2, v8
	s_wait_dscnt 0x0
	v_add_f32_e32 v8, v8, v9
	ds_bpermute_b32 v9, v3, v8
	;; [unrolled: 3-line block ×4, first 2 shown]
	s_and_saveexec_b32 s10, s1
	s_cbranch_execz .LBB7_10
; %bb.9:
	s_wait_dscnt 0x0
	v_add_f32_e32 v8, v8, v9
	s_wait_alu 0xfffe
	s_delay_alu instid0(VALU_DEP_1) | instskip(SKIP_1) | instid1(VALU_DEP_2)
	v_div_scale_f32 v9, null, s9, s9, v8
	v_div_scale_f32 v12, vcc_lo, v8, s9, v8
	v_rcp_f32_e32 v10, v9
	s_delay_alu instid0(TRANS32_DEP_1) | instskip(NEXT) | instid1(VALU_DEP_1)
	v_fma_f32 v11, -v9, v10, 1.0
	v_fmac_f32_e32 v10, v11, v10
	s_delay_alu instid0(VALU_DEP_1) | instskip(NEXT) | instid1(VALU_DEP_1)
	v_mul_f32_e32 v11, v12, v10
	v_fma_f32 v13, -v9, v11, v12
	s_delay_alu instid0(VALU_DEP_1) | instskip(NEXT) | instid1(VALU_DEP_1)
	v_fmac_f32_e32 v11, v13, v10
	v_fma_f32 v9, -v9, v11, v12
	s_wait_alu 0xfffd
	s_delay_alu instid0(VALU_DEP_1) | instskip(NEXT) | instid1(VALU_DEP_1)
	v_div_fmas_f32 v9, v9, v10, v11
	v_div_fixup_f32 v8, v9, s9, v8
	v_mov_b32_e32 v9, 0
	ds_store_b32 v9, v8 offset:132
.LBB7_10:
	s_wait_alu 0xfffe
	s_or_b32 exec_lo, exec_lo, s10
	v_mov_b32_e32 v8, 0
	s_and_b32 s8, 0xffff, s8
	s_wait_loadcnt_dscnt 0x0
	s_barrier_signal -1
	s_barrier_wait -1
	global_inv scope:SCOPE_SE
	s_and_saveexec_b32 s10, s2
	s_cbranch_execz .LBB7_14
; %bb.11:
	v_mov_b32_e32 v8, 0
	v_mov_b32_e32 v10, v0
	s_lshr_b32 s15, s17, 1
	s_mov_b32 s11, 0
	ds_load_b32 v9, v8 offset:132
.LBB7_12:                               ; =>This Inner Loop Header: Depth=1
	v_add_nc_u32_e32 v11, s15, v10
	s_wait_alu 0xfffe
	v_add_nc_u32_e32 v10, s8, v10
	s_delay_alu instid0(VALU_DEP_2) | instskip(NEXT) | instid1(VALU_DEP_1)
	v_ashrrev_i32_e32 v12, 31, v11
	v_lshlrev_b64_e32 v[11:12], 3, v[11:12]
	s_delay_alu instid0(VALU_DEP_1) | instskip(SKIP_1) | instid1(VALU_DEP_2)
	v_add_co_u32 v11, vcc_lo, s12, v11
	s_wait_alu 0xfffd
	v_add_co_ci_u32_e64 v12, null, s13, v12, vcc_lo
	v_cmp_le_i32_e32 vcc_lo, s16, v10
	global_load_b64 v[11:12], v[11:12], off
	s_or_b32 s11, vcc_lo, s11
	s_wait_loadcnt_dscnt 0x0
	v_sub_f32_e32 v11, v11, v9
	v_sub_f32_e32 v12, v12, v9
	s_delay_alu instid0(VALU_DEP_2) | instskip(NEXT) | instid1(VALU_DEP_1)
	v_fmac_f32_e32 v8, v11, v11
	v_fmac_f32_e32 v8, v12, v12
	s_wait_alu 0xfffe
	s_and_not1_b32 exec_lo, exec_lo, s11
	s_cbranch_execnz .LBB7_12
; %bb.13:
	s_or_b32 exec_lo, exec_lo, s11
.LBB7_14:
	s_wait_alu 0xfffe
	s_or_b32 exec_lo, exec_lo, s10
	ds_bpermute_b32 v9, v1, v8
	s_wait_dscnt 0x0
	v_add_f32_e32 v8, v8, v9
	ds_bpermute_b32 v9, v2, v8
	s_wait_dscnt 0x0
	v_add_f32_e32 v8, v8, v9
	;; [unrolled: 3-line block ×4, first 2 shown]
	ds_bpermute_b32 v9, v5, v8
	s_and_saveexec_b32 s10, s3
	s_cbranch_execz .LBB7_16
; %bb.15:
	s_wait_dscnt 0x0
	v_add_f32_e32 v8, v8, v9
	ds_store_b32 v6, v8
.LBB7_16:
	s_wait_alu 0xfffe
	s_or_b32 exec_lo, exec_lo, s10
	v_mov_b32_e32 v6, 0
	s_wait_loadcnt_dscnt 0x0
	s_barrier_signal -1
	s_barrier_wait -1
	global_inv scope:SCOPE_SE
	s_and_saveexec_b32 s3, s0
; %bb.17:
	ds_load_b32 v6, v7
; %bb.18:
	s_or_b32 exec_lo, exec_lo, s3
	s_wait_dscnt 0x0
	ds_bpermute_b32 v1, v1, v6
	s_wait_dscnt 0x0
	v_add_f32_e32 v1, v6, v1
	ds_bpermute_b32 v2, v2, v1
	s_wait_dscnt 0x0
	v_add_f32_e32 v1, v1, v2
	;; [unrolled: 3-line block ×4, first 2 shown]
	ds_bpermute_b32 v2, v5, v1
	s_and_saveexec_b32 s0, s1
	s_cbranch_execz .LBB7_20
; %bb.19:
	s_wait_dscnt 0x0
	v_add_f32_e32 v1, v1, v2
	s_delay_alu instid0(VALU_DEP_1) | instskip(SKIP_1) | instid1(VALU_DEP_2)
	v_div_scale_f32 v2, null, s9, s9, v1
	v_div_scale_f32 v5, vcc_lo, v1, s9, v1
	v_rcp_f32_e32 v3, v2
	s_delay_alu instid0(TRANS32_DEP_1) | instskip(NEXT) | instid1(VALU_DEP_1)
	v_fma_f32 v4, -v2, v3, 1.0
	v_fmac_f32_e32 v3, v4, v3
	s_delay_alu instid0(VALU_DEP_1) | instskip(NEXT) | instid1(VALU_DEP_1)
	v_mul_f32_e32 v4, v5, v3
	v_fma_f32 v6, -v2, v4, v5
	s_delay_alu instid0(VALU_DEP_1) | instskip(NEXT) | instid1(VALU_DEP_1)
	v_fmac_f32_e32 v4, v6, v3
	v_fma_f32 v2, -v2, v4, v5
	s_wait_alu 0xfffd
	s_delay_alu instid0(VALU_DEP_1) | instskip(NEXT) | instid1(VALU_DEP_1)
	v_div_fmas_f32 v2, v2, v3, v4
	v_div_fixup_f32 v1, v2, s9, v1
	s_delay_alu instid0(VALU_DEP_1) | instskip(NEXT) | instid1(VALU_DEP_1)
	v_add_f32_e32 v1, s14, v1
	v_mul_f32_e32 v2, 0x4b800000, v1
	v_cmp_gt_f32_e32 vcc_lo, 0x800000, v1
	s_wait_alu 0xfffd
	s_delay_alu instid0(VALU_DEP_2) | instskip(NEXT) | instid1(VALU_DEP_1)
	v_cndmask_b32_e32 v1, v1, v2, vcc_lo
	v_rsq_f32_e32 v1, v1
	s_delay_alu instid0(TRANS32_DEP_1) | instskip(NEXT) | instid1(VALU_DEP_1)
	v_mul_f32_e32 v2, 0x45800000, v1
	v_dual_cndmask_b32 v1, v1, v2 :: v_dual_mov_b32 v2, 0
	ds_store_b32 v2, v1 offset:128
.LBB7_20:
	s_wait_alu 0xfffe
	s_or_b32 exec_lo, exec_lo, s0
	s_wait_loadcnt_dscnt 0x0
	s_barrier_signal -1
	s_barrier_wait -1
	global_inv scope:SCOPE_SE
	s_and_saveexec_b32 s0, s2
	s_cbranch_execz .LBB7_23
; %bb.21:
	v_mov_b32_e32 v3, 0
	v_lshl_or_b32 v4, v0, 3, 4
	s_lshr_b32 s1, s17, 1
	s_mov_b32 s2, 0
	s_lshl_b32 s3, s8, 3
	ds_load_b64 v[1:2], v3 offset:128
.LBB7_22:                               ; =>This Inner Loop Header: Depth=1
	s_wait_alu 0xfffe
	v_add_nc_u32_e32 v5, s1, v0
	v_add_co_u32 v7, vcc_lo, s4, v4
	s_wait_alu 0xfffd
	v_add_co_ci_u32_e64 v8, null, s5, v3, vcc_lo
	s_delay_alu instid0(VALU_DEP_3) | instskip(SKIP_3) | instid1(VALU_DEP_3)
	v_ashrrev_i32_e32 v6, 31, v5
	v_add_co_u32 v11, vcc_lo, s6, v4
	s_wait_alu 0xfffd
	v_add_co_ci_u32_e64 v12, null, s7, v3, vcc_lo
	v_lshlrev_b64_e32 v[5:6], 3, v[5:6]
	v_add_co_u32 v4, vcc_lo, v4, s3
	s_wait_alu 0xfffd
	v_add_co_ci_u32_e64 v3, null, 0, v3, vcc_lo
	v_add_nc_u32_e32 v0, s8, v0
	s_delay_alu instid0(VALU_DEP_4) | instskip(SKIP_2) | instid1(VALU_DEP_3)
	v_add_co_u32 v5, s0, s12, v5
	s_wait_alu 0xf1ff
	v_add_co_ci_u32_e64 v6, null, s13, v6, s0
	v_cmp_le_i32_e64 s0, s16, v0
	global_load_b64 v[9:10], v[5:6], off
	global_load_b64 v[7:8], v[7:8], off offset:-4
	global_load_b64 v[11:12], v[11:12], off offset:-4
	s_or_b32 s2, s0, s2
	s_wait_loadcnt_dscnt 0x200
	v_sub_f32_e32 v9, v9, v2
	v_sub_f32_e32 v10, v10, v2
	s_delay_alu instid0(VALU_DEP_1) | instskip(SKIP_1) | instid1(VALU_DEP_1)
	v_mul_f32_e32 v10, v10, v1
	s_wait_loadcnt 0x0
	v_dual_mul_f32 v9, v9, v1 :: v_dual_fmac_f32 v12, v8, v10
	s_delay_alu instid0(VALU_DEP_1)
	v_fma_f32 v11, v7, v9, v11
	global_store_b64 v[5:6], v[11:12], off
	s_wait_alu 0xfffe
	s_and_not1_b32 exec_lo, exec_lo, s2
	s_cbranch_execnz .LBB7_22
.LBB7_23:
	s_endpgm
	.section	.rodata,"a",@progbits
	.p2align	6, 0x0
	.amdhsa_kernel _Z35generalAddBiasResidualPostLayerNormIfLi32EEvPT_PKS0_S3_S3_S3_fi
		.amdhsa_group_segment_fixed_size 136
		.amdhsa_private_segment_fixed_size 0
		.amdhsa_kernarg_size 304
		.amdhsa_user_sgpr_count 2
		.amdhsa_user_sgpr_dispatch_ptr 0
		.amdhsa_user_sgpr_queue_ptr 0
		.amdhsa_user_sgpr_kernarg_segment_ptr 1
		.amdhsa_user_sgpr_dispatch_id 0
		.amdhsa_user_sgpr_private_segment_size 0
		.amdhsa_wavefront_size32 1
		.amdhsa_uses_dynamic_stack 0
		.amdhsa_enable_private_segment 0
		.amdhsa_system_sgpr_workgroup_id_x 1
		.amdhsa_system_sgpr_workgroup_id_y 0
		.amdhsa_system_sgpr_workgroup_id_z 0
		.amdhsa_system_sgpr_workgroup_info 0
		.amdhsa_system_vgpr_workitem_id 0
		.amdhsa_next_free_vgpr 14
		.amdhsa_next_free_sgpr 21
		.amdhsa_reserve_vcc 1
		.amdhsa_float_round_mode_32 0
		.amdhsa_float_round_mode_16_64 0
		.amdhsa_float_denorm_mode_32 3
		.amdhsa_float_denorm_mode_16_64 3
		.amdhsa_fp16_overflow 0
		.amdhsa_workgroup_processor_mode 1
		.amdhsa_memory_ordered 1
		.amdhsa_forward_progress 1
		.amdhsa_inst_pref_size 15
		.amdhsa_round_robin_scheduling 0
		.amdhsa_exception_fp_ieee_invalid_op 0
		.amdhsa_exception_fp_denorm_src 0
		.amdhsa_exception_fp_ieee_div_zero 0
		.amdhsa_exception_fp_ieee_overflow 0
		.amdhsa_exception_fp_ieee_underflow 0
		.amdhsa_exception_fp_ieee_inexact 0
		.amdhsa_exception_int_div_zero 0
	.end_amdhsa_kernel
	.section	.text._Z35generalAddBiasResidualPostLayerNormIfLi32EEvPT_PKS0_S3_S3_S3_fi,"axG",@progbits,_Z35generalAddBiasResidualPostLayerNormIfLi32EEvPT_PKS0_S3_S3_S3_fi,comdat
.Lfunc_end7:
	.size	_Z35generalAddBiasResidualPostLayerNormIfLi32EEvPT_PKS0_S3_S3_S3_fi, .Lfunc_end7-_Z35generalAddBiasResidualPostLayerNormIfLi32EEvPT_PKS0_S3_S3_S3_fi
                                        ; -- End function
	.set _Z35generalAddBiasResidualPostLayerNormIfLi32EEvPT_PKS0_S3_S3_S3_fi.num_vgpr, 14
	.set _Z35generalAddBiasResidualPostLayerNormIfLi32EEvPT_PKS0_S3_S3_S3_fi.num_agpr, 0
	.set _Z35generalAddBiasResidualPostLayerNormIfLi32EEvPT_PKS0_S3_S3_S3_fi.numbered_sgpr, 21
	.set _Z35generalAddBiasResidualPostLayerNormIfLi32EEvPT_PKS0_S3_S3_S3_fi.num_named_barrier, 0
	.set _Z35generalAddBiasResidualPostLayerNormIfLi32EEvPT_PKS0_S3_S3_S3_fi.private_seg_size, 0
	.set _Z35generalAddBiasResidualPostLayerNormIfLi32EEvPT_PKS0_S3_S3_S3_fi.uses_vcc, 1
	.set _Z35generalAddBiasResidualPostLayerNormIfLi32EEvPT_PKS0_S3_S3_S3_fi.uses_flat_scratch, 0
	.set _Z35generalAddBiasResidualPostLayerNormIfLi32EEvPT_PKS0_S3_S3_S3_fi.has_dyn_sized_stack, 0
	.set _Z35generalAddBiasResidualPostLayerNormIfLi32EEvPT_PKS0_S3_S3_S3_fi.has_recursion, 0
	.set _Z35generalAddBiasResidualPostLayerNormIfLi32EEvPT_PKS0_S3_S3_S3_fi.has_indirect_call, 0
	.section	.AMDGPU.csdata,"",@progbits
; Kernel info:
; codeLenInByte = 1820
; TotalNumSgprs: 23
; NumVgprs: 14
; ScratchSize: 0
; MemoryBound: 0
; FloatMode: 240
; IeeeMode: 1
; LDSByteSize: 136 bytes/workgroup (compile time only)
; SGPRBlocks: 0
; VGPRBlocks: 1
; NumSGPRsForWavesPerEU: 23
; NumVGPRsForWavesPerEU: 14
; Occupancy: 16
; WaveLimiterHint : 0
; COMPUTE_PGM_RSRC2:SCRATCH_EN: 0
; COMPUTE_PGM_RSRC2:USER_SGPR: 2
; COMPUTE_PGM_RSRC2:TRAP_HANDLER: 0
; COMPUTE_PGM_RSRC2:TGID_X_EN: 1
; COMPUTE_PGM_RSRC2:TGID_Y_EN: 0
; COMPUTE_PGM_RSRC2:TGID_Z_EN: 0
; COMPUTE_PGM_RSRC2:TIDIG_COMP_CNT: 0
	.section	.text._Z30addBiasResidualPostLayerNormV2I6__halfLi64EEvPT_PKS1_S4_S4_S4_fi,"axG",@progbits,_Z30addBiasResidualPostLayerNormV2I6__halfLi64EEvPT_PKS1_S4_S4_S4_fi,comdat
	.protected	_Z30addBiasResidualPostLayerNormV2I6__halfLi64EEvPT_PKS1_S4_S4_S4_fi ; -- Begin function _Z30addBiasResidualPostLayerNormV2I6__halfLi64EEvPT_PKS1_S4_S4_S4_fi
	.globl	_Z30addBiasResidualPostLayerNormV2I6__halfLi64EEvPT_PKS1_S4_S4_S4_fi
	.p2align	8
	.type	_Z30addBiasResidualPostLayerNormV2I6__halfLi64EEvPT_PKS1_S4_S4_S4_fi,@function
_Z30addBiasResidualPostLayerNormV2I6__halfLi64EEvPT_PKS1_S4_S4_S4_fi: ; @_Z30addBiasResidualPostLayerNormV2I6__halfLi64EEvPT_PKS1_S4_S4_S4_fi
; %bb.0:
	s_clause 0x3
	s_load_b64 s[6:7], s[0:1], 0x28
	s_load_b32 s4, s[0:1], 0x3c
	s_load_b64 s[2:3], s[0:1], 0x10
	s_load_b128 s[8:11], s[0:1], 0x0
	v_lshlrev_b32_e32 v4, 2, v0
	s_wait_kmcnt 0x0
	s_mul_i32 s5, s7, ttmp9
	s_and_b32 s4, s4, 0xffff
	s_lshr_b32 s12, s5, 31
	global_load_b32 v16, v4, s[2:3]
	s_add_co_i32 s5, s5, s12
	s_delay_alu instid0(SALU_CYCLE_1) | instskip(NEXT) | instid1(SALU_CYCLE_1)
	s_ashr_i32 s5, s5, 1
	v_add_nc_u32_e32 v1, s5, v0
	v_add_co_u32 v3, s5, s2, v4
	s_wait_alu 0xf1ff
	v_add_co_ci_u32_e64 v6, null, s3, 0, s5
	s_delay_alu instid0(VALU_DEP_3) | instskip(SKIP_4) | instid1(VALU_DEP_1)
	v_add_nc_u32_e32 v5, s4, v1
	s_lshl_b32 s5, s4, 2
	v_ashrrev_i32_e32 v2, 31, v1
	s_wait_alu 0xfffe
	v_add_co_u32 v7, vcc_lo, v3, s5
	v_add_co_ci_u32_e64 v8, null, 0, v6, vcc_lo
	v_ashrrev_i32_e32 v6, 31, v5
	v_lshlrev_b64_e32 v[11:12], 2, v[1:2]
	v_add_nc_u32_e32 v9, s4, v5
	global_load_b32 v17, v[7:8], off
	v_lshlrev_b64_e32 v[5:6], 2, v[5:6]
	v_add_co_u32 v2, vcc_lo, s8, v11
	s_wait_alu 0xfffd
	v_add_co_ci_u32_e64 v3, null, s9, v12, vcc_lo
	v_add_co_u32 v11, vcc_lo, s10, v11
	v_ashrrev_i32_e32 v10, 31, v9
	s_wait_alu 0xfffd
	v_add_co_ci_u32_e64 v12, null, s11, v12, vcc_lo
	v_add_co_u32 v14, vcc_lo, s8, v5
	v_add_nc_u32_e32 v13, s4, v9
	s_wait_alu 0xfffd
	v_add_co_ci_u32_e64 v15, null, s9, v6, vcc_lo
	v_add_co_u32 v5, vcc_lo, s10, v5
	s_wait_alu 0xfffd
	v_add_co_ci_u32_e64 v6, null, s11, v6, vcc_lo
	v_lshlrev_b64_e32 v[9:10], 2, v[9:10]
	global_load_b32 v18, v[2:3], off
	global_load_b32 v19, v[11:12], off
	;; [unrolled: 1-line block ×4, first 2 shown]
	v_ashrrev_i32_e32 v14, 31, v13
	v_add_co_u32 v5, vcc_lo, s8, v9
	s_delay_alu instid0(VALU_DEP_2)
	v_lshlrev_b64_e32 v[11:12], 2, v[13:14]
	s_wait_alu 0xfffd
	v_add_co_ci_u32_e64 v6, null, s9, v10, vcc_lo
	v_add_co_u32 v9, vcc_lo, s10, v9
	s_wait_alu 0xfffd
	v_add_co_ci_u32_e64 v10, null, s11, v10, vcc_lo
	v_add_co_u32 v7, vcc_lo, v7, s5
	;; [unrolled: 3-line block ×4, first 2 shown]
	s_wait_alu 0xfffd
	v_add_co_ci_u32_e64 v12, null, s11, v12, vcc_lo
	global_load_b32 v21, v[5:6], off
	global_load_b32 v9, v[9:10], off
	;; [unrolled: 1-line block ×5, first 2 shown]
	v_add_co_u32 v5, vcc_lo, v7, s5
	s_wait_alu 0xfffd
	v_add_co_ci_u32_e64 v6, null, 0, v8, vcc_lo
	s_add_nc_u64 s[4:5], s[0:1], 48
	global_load_b32 v7, v[5:6], off
	s_wait_loadcnt 0x8
	v_pk_add_f16 v5, v18, v19
	s_delay_alu instid0(VALU_DEP_1) | instskip(SKIP_2) | instid1(VALU_DEP_2)
	v_pk_add_f16 v14, v5, v16
	s_wait_loadcnt 0x6
	v_pk_add_f16 v5, v15, v20
	v_pk_add_f16 v6, v14, 0
	s_delay_alu instid0(VALU_DEP_2) | instskip(SKIP_2) | instid1(VALU_DEP_2)
	v_pk_add_f16 v5, v5, v17
	s_wait_loadcnt 0x4
	v_pk_add_f16 v8, v21, v9
	v_pk_add_f16 v9, v6, v5
	s_wait_loadcnt 0x3
	s_delay_alu instid0(VALU_DEP_2) | instskip(SKIP_3) | instid1(VALU_DEP_3)
	v_pk_add_f16 v6, v8, v10
	s_wait_loadcnt 0x1
	v_pk_add_f16 v8, v13, v11
	v_mbcnt_lo_u32_b32 v13, -1, 0
	v_pk_add_f16 v9, v9, v6
	s_wait_loadcnt 0x0
	s_delay_alu instid0(VALU_DEP_3) | instskip(NEXT) | instid1(VALU_DEP_3)
	v_pk_add_f16 v7, v8, v7
	v_xor_b32_e32 v17, 1, v13
	s_delay_alu instid0(VALU_DEP_2) | instskip(SKIP_1) | instid1(VALU_DEP_2)
	v_pk_add_f16 v8, v9, v7
	v_or_b32_e32 v9, 32, v13
	v_lshrrev_b32_e32 v10, 16, v8
	s_delay_alu instid0(VALU_DEP_2) | instskip(NEXT) | instid1(VALU_DEP_2)
	v_cmp_gt_i32_e32 vcc_lo, 64, v9
	v_add_f16_e32 v10, v8, v10
	s_wait_alu 0xfffd
	v_cndmask_b32_e32 v9, v13, v9, vcc_lo
	s_delay_alu instid0(VALU_DEP_2) | instskip(NEXT) | instid1(VALU_DEP_2)
	v_cvt_f32_f16_e32 v10, v10
	v_lshlrev_b32_e32 v8, 2, v9
	v_xor_b32_e32 v9, 16, v13
	ds_bpermute_b32 v11, v8, v10
	v_cmp_gt_i32_e32 vcc_lo, 64, v9
	s_wait_alu 0xfffd
	v_cndmask_b32_e32 v9, v13, v9, vcc_lo
	s_wait_dscnt 0x0
	v_add_f32_e32 v11, v10, v11
	v_xor_b32_e32 v10, 8, v13
	s_delay_alu instid0(VALU_DEP_1) | instskip(SKIP_2) | instid1(VALU_DEP_1)
	v_cmp_gt_i32_e32 vcc_lo, 64, v10
	s_wait_alu 0xfffd
	v_cndmask_b32_e32 v10, v13, v10, vcc_lo
	v_lshlrev_b32_e32 v10, 2, v10
	v_lshlrev_b32_e32 v9, 2, v9
	ds_bpermute_b32 v12, v9, v11
	s_wait_dscnt 0x0
	v_add_f32_e32 v12, v11, v12
	v_xor_b32_e32 v11, 4, v13
	ds_bpermute_b32 v15, v10, v12
	v_cmp_gt_i32_e32 vcc_lo, 64, v11
	s_wait_alu 0xfffd
	v_cndmask_b32_e32 v11, v13, v11, vcc_lo
	s_wait_dscnt 0x0
	v_add_f32_e32 v15, v12, v15
	v_xor_b32_e32 v12, 2, v13
	s_delay_alu instid0(VALU_DEP_1) | instskip(SKIP_3) | instid1(VALU_DEP_2)
	v_cmp_gt_i32_e32 vcc_lo, 64, v12
	s_wait_alu 0xfffd
	v_cndmask_b32_e32 v12, v13, v12, vcc_lo
	v_cmp_gt_i32_e32 vcc_lo, 64, v17
	v_lshlrev_b32_e32 v12, 2, v12
	v_lshlrev_b32_e32 v11, 2, v11
	s_wait_alu 0xfffd
	v_cndmask_b32_e32 v13, v13, v17, vcc_lo
	v_mov_b32_e32 v17, 0
	ds_bpermute_b32 v16, v11, v15
	v_lshlrev_b32_e32 v13, 2, v13
	s_wait_dscnt 0x0
	v_add_f32_e32 v15, v15, v16
	ds_bpermute_b32 v16, v12, v15
	s_wait_dscnt 0x0
	v_add_f32_e32 v18, v15, v16
	v_and_b32_e32 v16, 63, v0
	v_lshrrev_b32_e32 v15, 4, v0
	ds_bpermute_b32 v19, v13, v18
	v_cmp_eq_u32_e64 s2, 0, v16
	s_and_saveexec_b32 s3, s2
	s_cbranch_execz .LBB8_2
; %bb.1:
	s_wait_dscnt 0x0
	v_add_f32_e32 v18, v18, v19
	ds_store_b32 v15, v18
.LBB8_2:
	s_wait_alu 0xfffe
	s_or_b32 exec_lo, exec_lo, s3
	s_wait_dscnt 0x0
	s_barrier_signal -1
	s_barrier_wait -1
	global_inv scope:SCOPE_SE
	s_load_b32 s5, s[4:5], 0xc
	v_lshlrev_b32_e32 v16, 2, v16
	s_wait_kmcnt 0x0
	s_bfe_u32 s3, s5, 0xa0006
	s_wait_alu 0xfffe
	v_cmp_gt_u32_e64 s3, s3, v0
	s_and_saveexec_b32 s4, s3
; %bb.3:
	ds_load_b32 v17, v16
; %bb.4:
	s_wait_alu 0xfffe
	s_or_b32 exec_lo, exec_lo, s4
	s_wait_dscnt 0x0
	ds_bpermute_b32 v18, v8, v17
	v_cmp_eq_u32_e64 s4, 0, v0
	s_cvt_f32_i32 s7, s7
	s_wait_dscnt 0x0
	v_add_f32_e32 v17, v17, v18
	ds_bpermute_b32 v18, v9, v17
	s_wait_dscnt 0x0
	v_add_f32_e32 v17, v17, v18
	ds_bpermute_b32 v18, v10, v17
	;; [unrolled: 3-line block ×5, first 2 shown]
	s_and_saveexec_b32 s10, s4
	s_cbranch_execz .LBB8_6
; %bb.5:
	s_wait_dscnt 0x0
	v_add_f32_e32 v0, v17, v18
	s_delay_alu instid0(VALU_DEP_1) | instskip(SKIP_1) | instid1(VALU_DEP_2)
	v_div_scale_f32 v17, null, s7, s7, v0
	v_div_scale_f32 v20, vcc_lo, v0, s7, v0
	v_rcp_f32_e32 v18, v17
	s_delay_alu instid0(TRANS32_DEP_1) | instskip(NEXT) | instid1(VALU_DEP_1)
	v_fma_f32 v19, -v17, v18, 1.0
	v_fmac_f32_e32 v18, v19, v18
	s_delay_alu instid0(VALU_DEP_1) | instskip(NEXT) | instid1(VALU_DEP_1)
	v_mul_f32_e32 v19, v20, v18
	v_fma_f32 v21, -v17, v19, v20
	s_delay_alu instid0(VALU_DEP_1) | instskip(NEXT) | instid1(VALU_DEP_1)
	v_fmac_f32_e32 v19, v21, v18
	v_fma_f32 v17, -v17, v19, v20
	s_wait_alu 0xfffd
	s_delay_alu instid0(VALU_DEP_1) | instskip(NEXT) | instid1(VALU_DEP_1)
	v_div_fmas_f32 v17, v17, v18, v19
	v_div_fixup_f32 v0, v17, s7, v0
	v_mov_b32_e32 v17, 0
	ds_store_b32 v17, v0 offset:68
.LBB8_6:
	s_wait_alu 0xfffe
	s_or_b32 exec_lo, exec_lo, s10
	v_mov_b32_e32 v17, 0
	s_wait_loadcnt_dscnt 0x0
	s_barrier_signal -1
	s_barrier_wait -1
	global_inv scope:SCOPE_SE
	ds_load_b32 v0, v17 offset:68
	s_wait_dscnt 0x0
	v_cvt_f16_f32_e32 v18, v0
	s_delay_alu instid0(VALU_DEP_1) | instskip(SKIP_3) | instid1(VALU_DEP_4)
	v_pk_add_f16 v0, v14, v18 op_sel_hi:[1,0] neg_lo:[0,1] neg_hi:[0,1]
	v_pk_add_f16 v5, v5, v18 op_sel_hi:[1,0] neg_lo:[0,1] neg_hi:[0,1]
	;; [unrolled: 1-line block ×4, first 2 shown]
	v_lshrrev_b32_e32 v14, 16, v0
	s_delay_alu instid0(VALU_DEP_4) | instskip(NEXT) | instid1(VALU_DEP_4)
	v_lshrrev_b32_e32 v19, 16, v5
	v_lshrrev_b32_e32 v20, 16, v6
	s_delay_alu instid0(VALU_DEP_3) | instskip(NEXT) | instid1(VALU_DEP_3)
	v_cvt_f32_f16_e32 v14, v14
	v_cvt_f32_f16_e32 v19, v19
	s_delay_alu instid0(VALU_DEP_3) | instskip(SKIP_1) | instid1(VALU_DEP_3)
	v_cvt_f32_f16_e32 v18, v20
	v_lshrrev_b32_e32 v20, 16, v7
	v_dual_mul_f32 v14, v14, v14 :: v_dual_mul_f32 v19, v19, v19
	s_delay_alu instid0(VALU_DEP_3) | instskip(NEXT) | instid1(VALU_DEP_3)
	v_mul_f32_e32 v18, v18, v18
	v_cvt_f32_f16_e32 v20, v20
	s_delay_alu instid0(VALU_DEP_3) | instskip(NEXT) | instid1(VALU_DEP_4)
	v_fma_mix_f32 v14, v0, v0, v14 op_sel_hi:[1,1,0]
	v_fma_mix_f32 v19, v5, v5, v19 op_sel_hi:[1,1,0]
	s_delay_alu instid0(VALU_DEP_4) | instskip(NEXT) | instid1(VALU_DEP_2)
	v_fma_mix_f32 v18, v6, v6, v18 op_sel_hi:[1,1,0]
	v_dual_add_f32 v14, v14, v19 :: v_dual_mul_f32 v19, v20, v20
	s_delay_alu instid0(VALU_DEP_1) | instskip(NEXT) | instid1(VALU_DEP_2)
	v_add_f32_e32 v14, v14, v18
	v_fma_mix_f32 v18, v7, v7, v19 op_sel_hi:[1,1,0]
	s_delay_alu instid0(VALU_DEP_1)
	v_add_f32_e32 v14, v14, v18
	ds_bpermute_b32 v18, v8, v14
	s_wait_dscnt 0x0
	v_add_f32_e32 v14, v14, v18
	ds_bpermute_b32 v18, v9, v14
	s_wait_dscnt 0x0
	;; [unrolled: 3-line block ×5, first 2 shown]
	v_add_f32_e32 v14, v14, v18
	ds_bpermute_b32 v18, v13, v14
	s_and_saveexec_b32 s10, s2
	s_cbranch_execz .LBB8_8
; %bb.7:
	s_wait_dscnt 0x0
	v_add_f32_e32 v14, v14, v18
	ds_store_b32 v15, v14
.LBB8_8:
	s_wait_alu 0xfffe
	s_or_b32 exec_lo, exec_lo, s10
	s_load_b128 s[12:15], s[0:1], 0x18
	s_wait_loadcnt_dscnt 0x0
	s_barrier_signal -1
	s_barrier_wait -1
	global_inv scope:SCOPE_SE
	s_and_saveexec_b32 s0, s3
; %bb.9:
	ds_load_b32 v17, v16
; %bb.10:
	s_or_b32 exec_lo, exec_lo, s0
	s_wait_dscnt 0x0
	ds_bpermute_b32 v8, v8, v17
	s_wait_dscnt 0x0
	v_add_f32_e32 v8, v17, v8
	ds_bpermute_b32 v9, v9, v8
	s_wait_dscnt 0x0
	v_add_f32_e32 v8, v8, v9
	;; [unrolled: 3-line block ×5, first 2 shown]
	ds_bpermute_b32 v9, v13, v8
	s_and_saveexec_b32 s0, s4
	s_cbranch_execz .LBB8_12
; %bb.11:
	s_wait_dscnt 0x0
	v_add_f32_e32 v8, v8, v9
	s_delay_alu instid0(VALU_DEP_1) | instskip(SKIP_1) | instid1(VALU_DEP_2)
	v_div_scale_f32 v9, null, s7, s7, v8
	v_div_scale_f32 v12, vcc_lo, v8, s7, v8
	v_rcp_f32_e32 v10, v9
	s_delay_alu instid0(TRANS32_DEP_1) | instskip(NEXT) | instid1(VALU_DEP_1)
	v_fma_f32 v11, -v9, v10, 1.0
	v_fmac_f32_e32 v10, v11, v10
	s_delay_alu instid0(VALU_DEP_1) | instskip(NEXT) | instid1(VALU_DEP_1)
	v_mul_f32_e32 v11, v12, v10
	v_fma_f32 v13, -v9, v11, v12
	s_delay_alu instid0(VALU_DEP_1) | instskip(NEXT) | instid1(VALU_DEP_1)
	v_fmac_f32_e32 v11, v13, v10
	v_fma_f32 v9, -v9, v11, v12
	s_wait_alu 0xfffd
	s_delay_alu instid0(VALU_DEP_1) | instskip(NEXT) | instid1(VALU_DEP_1)
	v_div_fmas_f32 v9, v9, v10, v11
	v_div_fixup_f32 v8, v9, s7, v8
	s_delay_alu instid0(VALU_DEP_1) | instskip(NEXT) | instid1(VALU_DEP_1)
	v_add_f32_e32 v8, s6, v8
	v_mul_f32_e32 v9, 0x4b800000, v8
	v_cmp_gt_f32_e32 vcc_lo, 0x800000, v8
	s_wait_alu 0xfffd
	s_delay_alu instid0(VALU_DEP_2) | instskip(NEXT) | instid1(VALU_DEP_1)
	v_cndmask_b32_e32 v8, v8, v9, vcc_lo
	v_rsq_f32_e32 v8, v8
	s_delay_alu instid0(TRANS32_DEP_1) | instskip(NEXT) | instid1(VALU_DEP_1)
	v_mul_f32_e32 v9, 0x45800000, v8
	v_dual_cndmask_b32 v8, v8, v9 :: v_dual_mov_b32 v9, 0
	ds_store_b32 v9, v8 offset:64
.LBB8_12:
	s_or_b32 exec_lo, exec_lo, s0
	s_wait_kmcnt 0x0
	v_add_co_u32 v8, s1, s12, v4
	s_and_b32 s0, 0xffff, s5
	s_wait_dscnt 0x0
	v_add_co_ci_u32_e64 v9, null, s13, 0, s1
	v_add_co_u32 v10, s2, s14, v4
	s_lshl_b32 s1, s0, 2
	v_add_co_ci_u32_e64 v11, null, s15, 0, s2
	s_wait_alu 0xfffe
	v_add_co_u32 v8, vcc_lo, v8, s1
	s_wait_alu 0xfffd
	v_add_co_ci_u32_e64 v9, null, 0, v9, vcc_lo
	v_add_co_u32 v10, vcc_lo, v10, s1
	s_wait_alu 0xfffd
	v_add_co_ci_u32_e64 v11, null, 0, v11, vcc_lo
	s_wait_loadcnt 0x0
	s_barrier_signal -1
	s_barrier_wait -1
	global_inv scope:SCOPE_SE
	s_clause 0x1
	global_load_b32 v18, v4, s[12:13]
	global_load_b32 v4, v4, s[14:15]
	global_load_b32 v19, v[8:9], off
	v_add_co_u32 v8, vcc_lo, v8, s1
	s_wait_alu 0xfffd
	v_add_co_ci_u32_e64 v9, null, 0, v9, vcc_lo
	v_add_co_u32 v12, vcc_lo, v10, s1
	s_wait_alu 0xfffd
	v_add_co_ci_u32_e64 v13, null, 0, v11, vcc_lo
	;; [unrolled: 3-line block ×4, first 2 shown]
	global_load_b32 v20, v[10:11], off
	global_load_b32 v21, v[8:9], off
	;; [unrolled: 1-line block ×5, first 2 shown]
	v_mov_b32_e32 v8, 0
	ds_load_b32 v16, v8 offset:64
	v_add_nc_u32_e32 v8, s0, v1
	s_delay_alu instid0(VALU_DEP_1) | instskip(SKIP_1) | instid1(VALU_DEP_2)
	v_add_nc_u32_e32 v10, s0, v8
	v_ashrrev_i32_e32 v9, 31, v8
	v_add_nc_u32_e32 v12, s0, v10
	v_ashrrev_i32_e32 v11, 31, v10
	s_delay_alu instid0(VALU_DEP_3) | instskip(NEXT) | instid1(VALU_DEP_3)
	v_lshlrev_b64_e32 v[8:9], 2, v[8:9]
	v_ashrrev_i32_e32 v13, 31, v12
	s_delay_alu instid0(VALU_DEP_3) | instskip(NEXT) | instid1(VALU_DEP_3)
	v_lshlrev_b64_e32 v[10:11], 2, v[10:11]
	v_add_co_u32 v8, vcc_lo, s8, v8
	s_wait_dscnt 0x0
	v_cvt_f16_f32_e32 v1, v16
	v_lshlrev_b64_e32 v[12:13], 2, v[12:13]
	s_wait_alu 0xfffd
	v_add_co_ci_u32_e64 v9, null, s9, v9, vcc_lo
	s_delay_alu instid0(VALU_DEP_3)
	v_pk_mul_f16 v16, v1, v0 op_sel_hi:[0,1]
	v_pk_mul_f16 v5, v1, v5 op_sel_hi:[0,1]
	;; [unrolled: 1-line block ×4, first 2 shown]
	v_add_co_u32 v0, vcc_lo, s8, v10
	s_wait_alu 0xfffd
	v_add_co_ci_u32_e64 v1, null, s9, v11, vcc_lo
	s_wait_loadcnt 0x6
	v_pk_fma_f16 v10, v16, v18, v4
	v_add_co_u32 v4, vcc_lo, s8, v12
	s_wait_loadcnt 0x4
	v_pk_fma_f16 v11, v5, v19, v20
	s_wait_alu 0xfffd
	v_add_co_ci_u32_e64 v5, null, s9, v13, vcc_lo
	s_wait_loadcnt 0x2
	v_pk_fma_f16 v6, v6, v21, v22
	s_wait_loadcnt 0x0
	v_pk_fma_f16 v7, v7, v14, v15
	s_clause 0x3
	global_store_b32 v[2:3], v10, off
	global_store_b32 v[8:9], v11, off
	;; [unrolled: 1-line block ×4, first 2 shown]
	s_endpgm
	.section	.rodata,"a",@progbits
	.p2align	6, 0x0
	.amdhsa_kernel _Z30addBiasResidualPostLayerNormV2I6__halfLi64EEvPT_PKS1_S4_S4_S4_fi
		.amdhsa_group_segment_fixed_size 72
		.amdhsa_private_segment_fixed_size 0
		.amdhsa_kernarg_size 304
		.amdhsa_user_sgpr_count 2
		.amdhsa_user_sgpr_dispatch_ptr 0
		.amdhsa_user_sgpr_queue_ptr 0
		.amdhsa_user_sgpr_kernarg_segment_ptr 1
		.amdhsa_user_sgpr_dispatch_id 0
		.amdhsa_user_sgpr_private_segment_size 0
		.amdhsa_wavefront_size32 1
		.amdhsa_uses_dynamic_stack 0
		.amdhsa_enable_private_segment 0
		.amdhsa_system_sgpr_workgroup_id_x 1
		.amdhsa_system_sgpr_workgroup_id_y 0
		.amdhsa_system_sgpr_workgroup_id_z 0
		.amdhsa_system_sgpr_workgroup_info 0
		.amdhsa_system_vgpr_workitem_id 0
		.amdhsa_next_free_vgpr 23
		.amdhsa_next_free_sgpr 16
		.amdhsa_reserve_vcc 1
		.amdhsa_float_round_mode_32 0
		.amdhsa_float_round_mode_16_64 0
		.amdhsa_float_denorm_mode_32 3
		.amdhsa_float_denorm_mode_16_64 3
		.amdhsa_fp16_overflow 0
		.amdhsa_workgroup_processor_mode 1
		.amdhsa_memory_ordered 1
		.amdhsa_forward_progress 1
		.amdhsa_inst_pref_size 20
		.amdhsa_round_robin_scheduling 0
		.amdhsa_exception_fp_ieee_invalid_op 0
		.amdhsa_exception_fp_denorm_src 0
		.amdhsa_exception_fp_ieee_div_zero 0
		.amdhsa_exception_fp_ieee_overflow 0
		.amdhsa_exception_fp_ieee_underflow 0
		.amdhsa_exception_fp_ieee_inexact 0
		.amdhsa_exception_int_div_zero 0
	.end_amdhsa_kernel
	.section	.text._Z30addBiasResidualPostLayerNormV2I6__halfLi64EEvPT_PKS1_S4_S4_S4_fi,"axG",@progbits,_Z30addBiasResidualPostLayerNormV2I6__halfLi64EEvPT_PKS1_S4_S4_S4_fi,comdat
.Lfunc_end8:
	.size	_Z30addBiasResidualPostLayerNormV2I6__halfLi64EEvPT_PKS1_S4_S4_S4_fi, .Lfunc_end8-_Z30addBiasResidualPostLayerNormV2I6__halfLi64EEvPT_PKS1_S4_S4_S4_fi
                                        ; -- End function
	.set _Z30addBiasResidualPostLayerNormV2I6__halfLi64EEvPT_PKS1_S4_S4_S4_fi.num_vgpr, 23
	.set _Z30addBiasResidualPostLayerNormV2I6__halfLi64EEvPT_PKS1_S4_S4_S4_fi.num_agpr, 0
	.set _Z30addBiasResidualPostLayerNormV2I6__halfLi64EEvPT_PKS1_S4_S4_S4_fi.numbered_sgpr, 16
	.set _Z30addBiasResidualPostLayerNormV2I6__halfLi64EEvPT_PKS1_S4_S4_S4_fi.num_named_barrier, 0
	.set _Z30addBiasResidualPostLayerNormV2I6__halfLi64EEvPT_PKS1_S4_S4_S4_fi.private_seg_size, 0
	.set _Z30addBiasResidualPostLayerNormV2I6__halfLi64EEvPT_PKS1_S4_S4_S4_fi.uses_vcc, 1
	.set _Z30addBiasResidualPostLayerNormV2I6__halfLi64EEvPT_PKS1_S4_S4_S4_fi.uses_flat_scratch, 0
	.set _Z30addBiasResidualPostLayerNormV2I6__halfLi64EEvPT_PKS1_S4_S4_S4_fi.has_dyn_sized_stack, 0
	.set _Z30addBiasResidualPostLayerNormV2I6__halfLi64EEvPT_PKS1_S4_S4_S4_fi.has_recursion, 0
	.set _Z30addBiasResidualPostLayerNormV2I6__halfLi64EEvPT_PKS1_S4_S4_S4_fi.has_indirect_call, 0
	.section	.AMDGPU.csdata,"",@progbits
; Kernel info:
; codeLenInByte = 2488
; TotalNumSgprs: 18
; NumVgprs: 23
; ScratchSize: 0
; MemoryBound: 0
; FloatMode: 240
; IeeeMode: 1
; LDSByteSize: 72 bytes/workgroup (compile time only)
; SGPRBlocks: 0
; VGPRBlocks: 2
; NumSGPRsForWavesPerEU: 18
; NumVGPRsForWavesPerEU: 23
; Occupancy: 16
; WaveLimiterHint : 0
; COMPUTE_PGM_RSRC2:SCRATCH_EN: 0
; COMPUTE_PGM_RSRC2:USER_SGPR: 2
; COMPUTE_PGM_RSRC2:TRAP_HANDLER: 0
; COMPUTE_PGM_RSRC2:TGID_X_EN: 1
; COMPUTE_PGM_RSRC2:TGID_Y_EN: 0
; COMPUTE_PGM_RSRC2:TGID_Z_EN: 0
; COMPUTE_PGM_RSRC2:TIDIG_COMP_CNT: 0
	.section	.text._Z30addBiasResidualPostLayerNormV2I6__halfLi32EEvPT_PKS1_S4_S4_S4_fi,"axG",@progbits,_Z30addBiasResidualPostLayerNormV2I6__halfLi32EEvPT_PKS1_S4_S4_S4_fi,comdat
	.protected	_Z30addBiasResidualPostLayerNormV2I6__halfLi32EEvPT_PKS1_S4_S4_S4_fi ; -- Begin function _Z30addBiasResidualPostLayerNormV2I6__halfLi32EEvPT_PKS1_S4_S4_S4_fi
	.globl	_Z30addBiasResidualPostLayerNormV2I6__halfLi32EEvPT_PKS1_S4_S4_S4_fi
	.p2align	8
	.type	_Z30addBiasResidualPostLayerNormV2I6__halfLi32EEvPT_PKS1_S4_S4_S4_fi,@function
_Z30addBiasResidualPostLayerNormV2I6__halfLi32EEvPT_PKS1_S4_S4_S4_fi: ; @_Z30addBiasResidualPostLayerNormV2I6__halfLi32EEvPT_PKS1_S4_S4_S4_fi
; %bb.0:
	s_clause 0x3
	s_load_b64 s[12:13], s[0:1], 0x28
	s_load_b32 s2, s[0:1], 0x3c
	s_load_b64 s[8:9], s[0:1], 0x10
	s_load_b128 s[4:7], s[0:1], 0x0
	v_lshlrev_b32_e32 v9, 2, v0
	s_wait_kmcnt 0x0
	s_mul_i32 s3, s13, ttmp9
	s_and_b32 s2, s2, 0xffff
	s_lshr_b32 s10, s3, 31
	s_lshl_b32 s14, s2, 2
	s_add_co_i32 s3, s3, s10
	global_load_b32 v18, v9, s[8:9]
	s_ashr_i32 s3, s3, 1
	s_delay_alu instid0(SALU_CYCLE_1) | instskip(SKIP_3) | instid1(VALU_DEP_3)
	v_add_nc_u32_e32 v1, s3, v0
	v_add_co_u32 v4, s3, s8, v9
	s_wait_alu 0xf1ff
	v_add_co_ci_u32_e64 v5, null, s9, 0, s3
	v_add_nc_u32_e32 v3, s2, v1
	v_ashrrev_i32_e32 v2, 31, v1
	v_add_co_u32 v7, vcc_lo, v4, s14
	s_delay_alu instid0(VALU_DEP_1) | instskip(NEXT) | instid1(VALU_DEP_4)
	v_add_co_ci_u32_e64 v8, null, 0, v5, vcc_lo
	v_ashrrev_i32_e32 v4, 31, v3
	v_add_nc_u32_e32 v5, s2, v3
	v_lshlrev_b64_e32 v[10:11], 2, v[1:2]
	global_load_b32 v19, v[7:8], off
	v_lshlrev_b64_e32 v[12:13], 2, v[3:4]
	v_ashrrev_i32_e32 v6, 31, v5
	v_add_nc_u32_e32 v14, s2, v5
	v_add_co_u32 v1, vcc_lo, s4, v10
	s_wait_alu 0xfffd
	v_add_co_ci_u32_e64 v2, null, s5, v11, vcc_lo
	v_add_co_u32 v10, vcc_lo, s6, v10
	s_wait_alu 0xfffd
	v_add_co_ci_u32_e64 v11, null, s7, v11, vcc_lo
	v_add_co_u32 v3, vcc_lo, s4, v12
	v_lshlrev_b64_e32 v[16:17], 2, v[5:6]
	v_ashrrev_i32_e32 v15, 31, v14
	s_wait_alu 0xfffd
	v_add_co_ci_u32_e64 v4, null, s5, v13, vcc_lo
	v_add_co_u32 v12, vcc_lo, s6, v12
	s_wait_alu 0xfffd
	v_add_co_ci_u32_e64 v13, null, s7, v13, vcc_lo
	global_load_b32 v20, v[10:11], off
	s_clause 0x1
	global_load_b32 v21, v[1:2], off
	global_load_b32 v22, v[3:4], off
	;; [unrolled: 1-line block ×3, first 2 shown]
	v_add_co_u32 v5, vcc_lo, s4, v16
	v_lshlrev_b64_e32 v[12:13], 2, v[14:15]
	s_wait_alu 0xfffd
	v_add_co_ci_u32_e64 v6, null, s5, v17, vcc_lo
	v_add_co_u32 v10, vcc_lo, s6, v16
	s_wait_alu 0xfffd
	v_add_co_ci_u32_e64 v11, null, s7, v17, vcc_lo
	v_add_co_u32 v14, vcc_lo, v7, s14
	;; [unrolled: 3-line block ×4, first 2 shown]
	s_wait_alu 0xfffd
	v_add_co_ci_u32_e64 v13, null, s7, v13, vcc_lo
	global_load_b32 v16, v[10:11], off
	global_load_b32 v17, v[14:15], off
	s_clause 0x1
	global_load_b32 v24, v[5:6], off
	global_load_b32 v25, v[7:8], off
	;; [unrolled: 1-line block ×3, first 2 shown]
	v_add_co_u32 v10, vcc_lo, v14, s14
	s_wait_alu 0xfffd
	v_add_co_ci_u32_e64 v11, null, 0, v15, vcc_lo
	global_load_b32 v10, v[10:11], off
	s_wait_loadcnt 0x8
	v_pk_add_f16 v11, v21, v20
	s_delay_alu instid0(VALU_DEP_1) | instskip(SKIP_2) | instid1(VALU_DEP_2)
	v_pk_add_f16 v18, v11, v18
	s_wait_loadcnt 0x6
	v_pk_add_f16 v11, v22, v23
	v_pk_add_f16 v14, v18, 0
	s_delay_alu instid0(VALU_DEP_2) | instskip(NEXT) | instid1(VALU_DEP_1)
	v_pk_add_f16 v13, v11, v19
	v_pk_add_f16 v14, v14, v13
	s_wait_loadcnt 0x3
	v_pk_add_f16 v11, v24, v16
	v_mbcnt_lo_u32_b32 v16, -1, 0
	s_delay_alu instid0(VALU_DEP_2) | instskip(SKIP_2) | instid1(VALU_DEP_3)
	v_pk_add_f16 v15, v11, v17
	s_wait_loadcnt 0x1
	v_pk_add_f16 v11, v25, v12
	v_xor_b32_e32 v21, 1, v16
	s_delay_alu instid0(VALU_DEP_3) | instskip(SKIP_1) | instid1(VALU_DEP_3)
	v_pk_add_f16 v12, v14, v15
	s_wait_loadcnt 0x0
	v_pk_add_f16 v17, v11, v10
	v_xor_b32_e32 v11, 16, v16
	s_delay_alu instid0(VALU_DEP_2) | instskip(NEXT) | instid1(VALU_DEP_2)
	v_pk_add_f16 v10, v12, v17
	v_cmp_gt_i32_e32 vcc_lo, 32, v11
	s_delay_alu instid0(VALU_DEP_2) | instskip(SKIP_2) | instid1(VALU_DEP_2)
	v_lshrrev_b32_e32 v12, 16, v10
	s_wait_alu 0xfffd
	v_cndmask_b32_e32 v11, v16, v11, vcc_lo
	v_add_f16_e32 v12, v10, v12
	s_delay_alu instid0(VALU_DEP_2) | instskip(SKIP_1) | instid1(VALU_DEP_3)
	v_lshlrev_b32_e32 v10, 2, v11
	v_xor_b32_e32 v11, 8, v16
	v_cvt_f32_f16_e32 v12, v12
	s_delay_alu instid0(VALU_DEP_2)
	v_cmp_gt_i32_e32 vcc_lo, 32, v11
	ds_bpermute_b32 v14, v10, v12
	s_wait_alu 0xfffd
	v_cndmask_b32_e32 v11, v16, v11, vcc_lo
	s_wait_dscnt 0x0
	v_add_f32_e32 v14, v12, v14
	v_xor_b32_e32 v12, 4, v16
	s_delay_alu instid0(VALU_DEP_1) | instskip(SKIP_2) | instid1(VALU_DEP_1)
	v_cmp_gt_i32_e32 vcc_lo, 32, v12
	s_wait_alu 0xfffd
	v_cndmask_b32_e32 v12, v16, v12, vcc_lo
	v_lshlrev_b32_e32 v12, 2, v12
	v_lshlrev_b32_e32 v11, 2, v11
	ds_bpermute_b32 v19, v11, v14
	s_wait_dscnt 0x0
	v_add_f32_e32 v19, v14, v19
	v_xor_b32_e32 v14, 2, v16
	s_delay_alu instid0(VALU_DEP_1) | instskip(SKIP_3) | instid1(VALU_DEP_2)
	v_cmp_gt_i32_e32 vcc_lo, 32, v14
	s_wait_alu 0xfffd
	v_cndmask_b32_e32 v14, v16, v14, vcc_lo
	v_cmp_gt_i32_e32 vcc_lo, 32, v21
	v_lshlrev_b32_e32 v14, 2, v14
	ds_bpermute_b32 v20, v12, v19
	s_wait_alu 0xfffd
	v_dual_cndmask_b32 v16, v16, v21 :: v_dual_mov_b32 v21, 0
	s_delay_alu instid0(VALU_DEP_1)
	v_lshlrev_b32_e32 v16, 2, v16
	s_wait_dscnt 0x0
	v_add_f32_e32 v19, v19, v20
	ds_bpermute_b32 v20, v14, v19
	s_wait_dscnt 0x0
	v_add_f32_e32 v22, v19, v20
	v_and_b32_e32 v19, 31, v0
	v_lshrrev_b32_e32 v20, 3, v0
	ds_bpermute_b32 v23, v16, v22
	v_cmp_eq_u32_e64 s3, 0, v19
	s_and_saveexec_b32 s4, s3
	s_cbranch_execz .LBB9_2
; %bb.1:
	s_wait_dscnt 0x0
	v_add_f32_e32 v22, v22, v23
	ds_store_b32 v20, v22
.LBB9_2:
	s_wait_alu 0xfffe
	s_or_b32 exec_lo, exec_lo, s4
	s_lshr_b32 s2, s2, 5
	v_lshlrev_b32_e32 v19, 2, v19
	s_wait_alu 0xfffe
	v_cmp_gt_u32_e64 s2, s2, v0
	s_wait_dscnt 0x0
	s_barrier_signal -1
	s_barrier_wait -1
	global_inv scope:SCOPE_SE
	s_and_saveexec_b32 s4, s2
; %bb.3:
	ds_load_b32 v21, v19
; %bb.4:
	s_wait_alu 0xfffe
	s_or_b32 exec_lo, exec_lo, s4
	s_wait_dscnt 0x0
	ds_bpermute_b32 v22, v10, v21
	v_cmp_eq_u32_e64 s4, 0, v0
	s_cvt_f32_i32 s5, s13
	s_wait_dscnt 0x0
	v_add_f32_e32 v21, v21, v22
	ds_bpermute_b32 v22, v11, v21
	s_wait_dscnt 0x0
	v_add_f32_e32 v21, v21, v22
	ds_bpermute_b32 v22, v12, v21
	;; [unrolled: 3-line block ×4, first 2 shown]
	s_and_saveexec_b32 s6, s4
	s_cbranch_execz .LBB9_6
; %bb.5:
	s_wait_dscnt 0x0
	v_add_f32_e32 v0, v21, v22
	s_wait_alu 0xfffe
	s_delay_alu instid0(VALU_DEP_1) | instskip(SKIP_1) | instid1(VALU_DEP_2)
	v_div_scale_f32 v21, null, s5, s5, v0
	v_div_scale_f32 v24, vcc_lo, v0, s5, v0
	v_rcp_f32_e32 v22, v21
	s_delay_alu instid0(TRANS32_DEP_1) | instskip(NEXT) | instid1(VALU_DEP_1)
	v_fma_f32 v23, -v21, v22, 1.0
	v_fmac_f32_e32 v22, v23, v22
	s_delay_alu instid0(VALU_DEP_1) | instskip(NEXT) | instid1(VALU_DEP_1)
	v_mul_f32_e32 v23, v24, v22
	v_fma_f32 v25, -v21, v23, v24
	s_delay_alu instid0(VALU_DEP_1) | instskip(NEXT) | instid1(VALU_DEP_1)
	v_fmac_f32_e32 v23, v25, v22
	v_fma_f32 v21, -v21, v23, v24
	s_wait_alu 0xfffd
	s_delay_alu instid0(VALU_DEP_1) | instskip(NEXT) | instid1(VALU_DEP_1)
	v_div_fmas_f32 v21, v21, v22, v23
	v_div_fixup_f32 v0, v21, s5, v0
	v_mov_b32_e32 v21, 0
	ds_store_b32 v21, v0 offset:132
.LBB9_6:
	s_wait_alu 0xfffe
	s_or_b32 exec_lo, exec_lo, s6
	v_mov_b32_e32 v21, 0
	s_wait_loadcnt_dscnt 0x0
	s_barrier_signal -1
	s_barrier_wait -1
	global_inv scope:SCOPE_SE
	ds_load_b32 v0, v21 offset:132
	s_wait_dscnt 0x0
	v_cvt_f16_f32_e32 v22, v0
	s_delay_alu instid0(VALU_DEP_1) | instskip(SKIP_3) | instid1(VALU_DEP_4)
	v_pk_add_f16 v0, v18, v22 op_sel_hi:[1,0] neg_lo:[0,1] neg_hi:[0,1]
	v_pk_add_f16 v13, v13, v22 op_sel_hi:[1,0] neg_lo:[0,1] neg_hi:[0,1]
	;; [unrolled: 1-line block ×4, first 2 shown]
	v_lshrrev_b32_e32 v18, 16, v0
	s_delay_alu instid0(VALU_DEP_4) | instskip(NEXT) | instid1(VALU_DEP_4)
	v_lshrrev_b32_e32 v23, 16, v13
	v_lshrrev_b32_e32 v24, 16, v15
	s_delay_alu instid0(VALU_DEP_3) | instskip(NEXT) | instid1(VALU_DEP_3)
	v_cvt_f32_f16_e32 v18, v18
	v_cvt_f32_f16_e32 v23, v23
	s_delay_alu instid0(VALU_DEP_3) | instskip(SKIP_1) | instid1(VALU_DEP_3)
	v_cvt_f32_f16_e32 v22, v24
	v_lshrrev_b32_e32 v24, 16, v17
	v_dual_mul_f32 v18, v18, v18 :: v_dual_mul_f32 v23, v23, v23
	s_delay_alu instid0(VALU_DEP_3) | instskip(NEXT) | instid1(VALU_DEP_3)
	v_mul_f32_e32 v22, v22, v22
	v_cvt_f32_f16_e32 v24, v24
	s_delay_alu instid0(VALU_DEP_3) | instskip(NEXT) | instid1(VALU_DEP_4)
	v_fma_mix_f32 v18, v0, v0, v18 op_sel_hi:[1,1,0]
	v_fma_mix_f32 v23, v13, v13, v23 op_sel_hi:[1,1,0]
	s_delay_alu instid0(VALU_DEP_4) | instskip(NEXT) | instid1(VALU_DEP_2)
	v_fma_mix_f32 v22, v15, v15, v22 op_sel_hi:[1,1,0]
	v_dual_add_f32 v18, v18, v23 :: v_dual_mul_f32 v23, v24, v24
	s_delay_alu instid0(VALU_DEP_1) | instskip(NEXT) | instid1(VALU_DEP_2)
	v_add_f32_e32 v18, v18, v22
	v_fma_mix_f32 v22, v17, v17, v23 op_sel_hi:[1,1,0]
	s_delay_alu instid0(VALU_DEP_1)
	v_add_f32_e32 v18, v18, v22
	ds_bpermute_b32 v22, v10, v18
	s_wait_dscnt 0x0
	v_add_f32_e32 v18, v18, v22
	ds_bpermute_b32 v22, v11, v18
	s_wait_dscnt 0x0
	;; [unrolled: 3-line block ×4, first 2 shown]
	v_add_f32_e32 v18, v18, v22
	ds_bpermute_b32 v22, v16, v18
	s_and_saveexec_b32 s6, s3
	s_cbranch_execz .LBB9_8
; %bb.7:
	s_wait_dscnt 0x0
	v_add_f32_e32 v18, v18, v22
	ds_store_b32 v20, v18
.LBB9_8:
	s_wait_alu 0xfffe
	s_or_b32 exec_lo, exec_lo, s6
	s_load_b128 s[8:11], s[0:1], 0x18
	s_wait_loadcnt_dscnt 0x0
	s_barrier_signal -1
	s_barrier_wait -1
	global_inv scope:SCOPE_SE
	s_and_saveexec_b32 s0, s2
; %bb.9:
	ds_load_b32 v21, v19
; %bb.10:
	s_or_b32 exec_lo, exec_lo, s0
	s_wait_dscnt 0x0
	ds_bpermute_b32 v10, v10, v21
	s_wait_dscnt 0x0
	v_add_f32_e32 v10, v21, v10
	ds_bpermute_b32 v11, v11, v10
	s_wait_dscnt 0x0
	v_add_f32_e32 v10, v10, v11
	;; [unrolled: 3-line block ×4, first 2 shown]
	ds_bpermute_b32 v11, v16, v10
	s_and_saveexec_b32 s0, s4
	s_cbranch_execz .LBB9_12
; %bb.11:
	s_wait_dscnt 0x0
	v_add_f32_e32 v10, v10, v11
	s_delay_alu instid0(VALU_DEP_1) | instskip(SKIP_1) | instid1(VALU_DEP_2)
	v_div_scale_f32 v11, null, s5, s5, v10
	v_div_scale_f32 v16, vcc_lo, v10, s5, v10
	v_rcp_f32_e32 v12, v11
	s_delay_alu instid0(TRANS32_DEP_1) | instskip(NEXT) | instid1(VALU_DEP_1)
	v_fma_f32 v14, -v11, v12, 1.0
	v_fmac_f32_e32 v12, v14, v12
	s_delay_alu instid0(VALU_DEP_1) | instskip(NEXT) | instid1(VALU_DEP_1)
	v_mul_f32_e32 v14, v16, v12
	v_fma_f32 v18, -v11, v14, v16
	s_delay_alu instid0(VALU_DEP_1) | instskip(NEXT) | instid1(VALU_DEP_1)
	v_fmac_f32_e32 v14, v18, v12
	v_fma_f32 v11, -v11, v14, v16
	s_wait_alu 0xfffd
	s_delay_alu instid0(VALU_DEP_1) | instskip(NEXT) | instid1(VALU_DEP_1)
	v_div_fmas_f32 v11, v11, v12, v14
	v_div_fixup_f32 v10, v11, s5, v10
	s_delay_alu instid0(VALU_DEP_1) | instskip(NEXT) | instid1(VALU_DEP_1)
	v_add_f32_e32 v10, s12, v10
	v_mul_f32_e32 v11, 0x4b800000, v10
	v_cmp_gt_f32_e32 vcc_lo, 0x800000, v10
	s_wait_alu 0xfffd
	s_delay_alu instid0(VALU_DEP_2) | instskip(NEXT) | instid1(VALU_DEP_1)
	v_cndmask_b32_e32 v10, v10, v11, vcc_lo
	v_rsq_f32_e32 v10, v10
	s_delay_alu instid0(TRANS32_DEP_1) | instskip(NEXT) | instid1(VALU_DEP_1)
	v_mul_f32_e32 v11, 0x45800000, v10
	v_dual_cndmask_b32 v10, v10, v11 :: v_dual_mov_b32 v11, 0
	ds_store_b32 v11, v10 offset:128
.LBB9_12:
	s_or_b32 exec_lo, exec_lo, s0
	s_wait_kmcnt 0x0
	v_add_co_u32 v10, s0, s8, v9
	s_wait_dscnt 0x0
	v_add_co_ci_u32_e64 v11, null, s9, 0, s0
	v_add_co_u32 v12, s0, s10, v9
	s_wait_alu 0xf1ff
	v_add_co_ci_u32_e64 v14, null, s11, 0, s0
	v_add_co_u32 v10, vcc_lo, v10, s14
	s_wait_alu 0xfffd
	v_add_co_ci_u32_e64 v11, null, 0, v11, vcc_lo
	v_add_co_u32 v18, vcc_lo, v12, s14
	s_wait_alu 0xfffd
	v_add_co_ci_u32_e64 v19, null, 0, v14, vcc_lo
	s_wait_loadcnt 0x0
	s_barrier_signal -1
	s_barrier_wait -1
	global_inv scope:SCOPE_SE
	s_clause 0x1
	global_load_b32 v16, v9, s[8:9]
	global_load_b32 v24, v9, s[10:11]
	global_load_b32 v25, v[10:11], off
	v_add_co_u32 v9, vcc_lo, v10, s14
	s_wait_alu 0xfffd
	v_add_co_ci_u32_e64 v10, null, 0, v11, vcc_lo
	v_add_co_u32 v11, vcc_lo, v18, s14
	s_wait_alu 0xfffd
	v_add_co_ci_u32_e64 v12, null, 0, v19, vcc_lo
	;; [unrolled: 3-line block ×4, first 2 shown]
	global_load_b32 v14, v[18:19], off
	global_load_b32 v9, v[9:10], off
	;; [unrolled: 1-line block ×5, first 2 shown]
	v_mov_b32_e32 v18, 0
	ds_load_b32 v18, v18 offset:128
	s_wait_dscnt 0x0
	v_cvt_f16_f32_e32 v18, v18
	s_delay_alu instid0(VALU_DEP_1)
	v_pk_mul_f16 v0, v18, v0 op_sel_hi:[0,1]
	v_pk_mul_f16 v13, v18, v13 op_sel_hi:[0,1]
	v_pk_mul_f16 v15, v18, v15 op_sel_hi:[0,1]
	v_pk_mul_f16 v17, v18, v17 op_sel_hi:[0,1]
	s_wait_loadcnt 0x6
	v_pk_fma_f16 v0, v0, v16, v24
	s_wait_loadcnt 0x4
	v_pk_fma_f16 v13, v13, v25, v14
	;; [unrolled: 2-line block ×4, first 2 shown]
	s_clause 0x3
	global_store_b32 v[1:2], v0, off
	global_store_b32 v[3:4], v13, off
	;; [unrolled: 1-line block ×4, first 2 shown]
	s_endpgm
	.section	.rodata,"a",@progbits
	.p2align	6, 0x0
	.amdhsa_kernel _Z30addBiasResidualPostLayerNormV2I6__halfLi32EEvPT_PKS1_S4_S4_S4_fi
		.amdhsa_group_segment_fixed_size 136
		.amdhsa_private_segment_fixed_size 0
		.amdhsa_kernarg_size 304
		.amdhsa_user_sgpr_count 2
		.amdhsa_user_sgpr_dispatch_ptr 0
		.amdhsa_user_sgpr_queue_ptr 0
		.amdhsa_user_sgpr_kernarg_segment_ptr 1
		.amdhsa_user_sgpr_dispatch_id 0
		.amdhsa_user_sgpr_private_segment_size 0
		.amdhsa_wavefront_size32 1
		.amdhsa_uses_dynamic_stack 0
		.amdhsa_enable_private_segment 0
		.amdhsa_system_sgpr_workgroup_id_x 1
		.amdhsa_system_sgpr_workgroup_id_y 0
		.amdhsa_system_sgpr_workgroup_id_z 0
		.amdhsa_system_sgpr_workgroup_info 0
		.amdhsa_system_vgpr_workitem_id 0
		.amdhsa_next_free_vgpr 26
		.amdhsa_next_free_sgpr 15
		.amdhsa_reserve_vcc 1
		.amdhsa_float_round_mode_32 0
		.amdhsa_float_round_mode_16_64 0
		.amdhsa_float_denorm_mode_32 3
		.amdhsa_float_denorm_mode_16_64 3
		.amdhsa_fp16_overflow 0
		.amdhsa_workgroup_processor_mode 1
		.amdhsa_memory_ordered 1
		.amdhsa_forward_progress 1
		.amdhsa_inst_pref_size 18
		.amdhsa_round_robin_scheduling 0
		.amdhsa_exception_fp_ieee_invalid_op 0
		.amdhsa_exception_fp_denorm_src 0
		.amdhsa_exception_fp_ieee_div_zero 0
		.amdhsa_exception_fp_ieee_overflow 0
		.amdhsa_exception_fp_ieee_underflow 0
		.amdhsa_exception_fp_ieee_inexact 0
		.amdhsa_exception_int_div_zero 0
	.end_amdhsa_kernel
	.section	.text._Z30addBiasResidualPostLayerNormV2I6__halfLi32EEvPT_PKS1_S4_S4_S4_fi,"axG",@progbits,_Z30addBiasResidualPostLayerNormV2I6__halfLi32EEvPT_PKS1_S4_S4_S4_fi,comdat
.Lfunc_end9:
	.size	_Z30addBiasResidualPostLayerNormV2I6__halfLi32EEvPT_PKS1_S4_S4_S4_fi, .Lfunc_end9-_Z30addBiasResidualPostLayerNormV2I6__halfLi32EEvPT_PKS1_S4_S4_S4_fi
                                        ; -- End function
	.set _Z30addBiasResidualPostLayerNormV2I6__halfLi32EEvPT_PKS1_S4_S4_S4_fi.num_vgpr, 26
	.set _Z30addBiasResidualPostLayerNormV2I6__halfLi32EEvPT_PKS1_S4_S4_S4_fi.num_agpr, 0
	.set _Z30addBiasResidualPostLayerNormV2I6__halfLi32EEvPT_PKS1_S4_S4_S4_fi.numbered_sgpr, 15
	.set _Z30addBiasResidualPostLayerNormV2I6__halfLi32EEvPT_PKS1_S4_S4_S4_fi.num_named_barrier, 0
	.set _Z30addBiasResidualPostLayerNormV2I6__halfLi32EEvPT_PKS1_S4_S4_S4_fi.private_seg_size, 0
	.set _Z30addBiasResidualPostLayerNormV2I6__halfLi32EEvPT_PKS1_S4_S4_S4_fi.uses_vcc, 1
	.set _Z30addBiasResidualPostLayerNormV2I6__halfLi32EEvPT_PKS1_S4_S4_S4_fi.uses_flat_scratch, 0
	.set _Z30addBiasResidualPostLayerNormV2I6__halfLi32EEvPT_PKS1_S4_S4_S4_fi.has_dyn_sized_stack, 0
	.set _Z30addBiasResidualPostLayerNormV2I6__halfLi32EEvPT_PKS1_S4_S4_S4_fi.has_recursion, 0
	.set _Z30addBiasResidualPostLayerNormV2I6__halfLi32EEvPT_PKS1_S4_S4_S4_fi.has_indirect_call, 0
	.section	.AMDGPU.csdata,"",@progbits
; Kernel info:
; codeLenInByte = 2272
; TotalNumSgprs: 17
; NumVgprs: 26
; ScratchSize: 0
; MemoryBound: 0
; FloatMode: 240
; IeeeMode: 1
; LDSByteSize: 136 bytes/workgroup (compile time only)
; SGPRBlocks: 0
; VGPRBlocks: 3
; NumSGPRsForWavesPerEU: 17
; NumVGPRsForWavesPerEU: 26
; Occupancy: 16
; WaveLimiterHint : 0
; COMPUTE_PGM_RSRC2:SCRATCH_EN: 0
; COMPUTE_PGM_RSRC2:USER_SGPR: 2
; COMPUTE_PGM_RSRC2:TRAP_HANDLER: 0
; COMPUTE_PGM_RSRC2:TGID_X_EN: 1
; COMPUTE_PGM_RSRC2:TGID_Y_EN: 0
; COMPUTE_PGM_RSRC2:TGID_Z_EN: 0
; COMPUTE_PGM_RSRC2:TIDIG_COMP_CNT: 0
	.section	.text._Z28addBiasResidualPostLayerNormI6__halfLi1ELi64EEvPT_PKS1_S4_S4_S4_fi,"axG",@progbits,_Z28addBiasResidualPostLayerNormI6__halfLi1ELi64EEvPT_PKS1_S4_S4_S4_fi,comdat
	.protected	_Z28addBiasResidualPostLayerNormI6__halfLi1ELi64EEvPT_PKS1_S4_S4_S4_fi ; -- Begin function _Z28addBiasResidualPostLayerNormI6__halfLi1ELi64EEvPT_PKS1_S4_S4_S4_fi
	.globl	_Z28addBiasResidualPostLayerNormI6__halfLi1ELi64EEvPT_PKS1_S4_S4_S4_fi
	.p2align	8
	.type	_Z28addBiasResidualPostLayerNormI6__halfLi1ELi64EEvPT_PKS1_S4_S4_S4_fi,@function
_Z28addBiasResidualPostLayerNormI6__halfLi1ELi64EEvPT_PKS1_S4_S4_S4_fi: ; @_Z28addBiasResidualPostLayerNormI6__halfLi1ELi64EEvPT_PKS1_S4_S4_S4_fi
; %bb.0:
	s_clause 0x1
	s_load_b64 s[8:9], s[0:1], 0x28
	s_load_b64 s[6:7], s[0:1], 0x0
	v_mov_b32_e32 v5, 0
	v_lshlrev_b32_e32 v1, 1, v0
                                        ; implicit-def: $vgpr2
	s_wait_kmcnt 0x0
	v_cmp_gt_i32_e64 s2, s9, v0
	s_and_saveexec_b32 s3, s2
	s_cbranch_execz .LBB10_2
; %bb.1:
	s_load_b128 s[12:15], s[0:1], 0x8
	v_mad_co_u64_u32 v[2:3], null, s9, ttmp9, v[0:1]
	v_mov_b32_e32 v3, 0
	s_delay_alu instid0(VALU_DEP_1) | instskip(NEXT) | instid1(VALU_DEP_1)
	v_lshlrev_b64_e32 v[2:3], 1, v[2:3]
	v_add_co_u32 v4, vcc_lo, s6, v2
	s_delay_alu instid0(VALU_DEP_1)
	v_add_co_ci_u32_e64 v5, null, s7, v3, vcc_lo
	s_wait_kmcnt 0x0
	v_add_co_u32 v2, vcc_lo, s12, v2
	s_wait_alu 0xfffd
	v_add_co_ci_u32_e64 v3, null, s13, v3, vcc_lo
	global_load_u16 v4, v[4:5], off
	global_load_u16 v2, v[2:3], off
	global_load_u16 v3, v1, s[14:15]
	s_wait_loadcnt 0x1
	v_add_f16_e32 v2, v4, v2
	s_wait_loadcnt 0x0
	s_delay_alu instid0(VALU_DEP_1) | instskip(NEXT) | instid1(VALU_DEP_1)
	v_add_f16_e32 v2, v2, v3
	v_cvt_f32_f16_e32 v2, v2
	s_delay_alu instid0(VALU_DEP_1)
	v_add_f32_e32 v5, 0, v2
.LBB10_2:
	s_or_b32 exec_lo, exec_lo, s3
	v_mbcnt_lo_u32_b32 v8, -1, 0
	s_delay_alu instid0(VALU_DEP_1) | instskip(SKIP_2) | instid1(VALU_DEP_3)
	v_or_b32_e32 v3, 32, v8
	v_xor_b32_e32 v4, 16, v8
	v_xor_b32_e32 v11, 1, v8
	v_cmp_gt_i32_e32 vcc_lo, 64, v3
	s_wait_alu 0xfffd
	v_cndmask_b32_e32 v3, v8, v3, vcc_lo
	v_cmp_gt_i32_e32 vcc_lo, 64, v4
	s_wait_alu 0xfffd
	v_cndmask_b32_e32 v4, v8, v4, vcc_lo
	s_delay_alu instid0(VALU_DEP_1)
	v_lshlrev_b32_e32 v4, 2, v4
	v_lshlrev_b32_e32 v3, 2, v3
	ds_bpermute_b32 v6, v3, v5
	s_wait_dscnt 0x0
	v_add_f32_e32 v6, v5, v6
	v_xor_b32_e32 v5, 8, v8
	ds_bpermute_b32 v7, v4, v6
	v_cmp_gt_i32_e32 vcc_lo, 64, v5
	s_wait_alu 0xfffd
	v_cndmask_b32_e32 v5, v8, v5, vcc_lo
	s_wait_dscnt 0x0
	v_add_f32_e32 v7, v6, v7
	v_xor_b32_e32 v6, 4, v8
	s_delay_alu instid0(VALU_DEP_1) | instskip(SKIP_2) | instid1(VALU_DEP_1)
	v_cmp_gt_i32_e32 vcc_lo, 64, v6
	s_wait_alu 0xfffd
	v_cndmask_b32_e32 v6, v8, v6, vcc_lo
	v_lshlrev_b32_e32 v6, 2, v6
	v_lshlrev_b32_e32 v5, 2, v5
	ds_bpermute_b32 v9, v5, v7
	s_wait_dscnt 0x0
	v_add_f32_e32 v9, v7, v9
	v_xor_b32_e32 v7, 2, v8
	s_delay_alu instid0(VALU_DEP_1)
	v_cmp_gt_i32_e32 vcc_lo, 64, v7
	s_wait_alu 0xfffd
	v_cndmask_b32_e32 v7, v8, v7, vcc_lo
	v_cmp_gt_i32_e32 vcc_lo, 64, v11
	s_wait_alu 0xfffd
	v_cndmask_b32_e32 v8, v8, v11, vcc_lo
	ds_bpermute_b32 v10, v6, v9
	v_lshlrev_b32_e32 v8, 2, v8
	v_lshlrev_b32_e32 v7, 2, v7
	s_wait_dscnt 0x0
	v_add_f32_e32 v9, v9, v10
	ds_bpermute_b32 v10, v7, v9
	s_wait_dscnt 0x0
	v_dual_add_f32 v11, v9, v10 :: v_dual_and_b32 v10, 63, v0
	v_lshrrev_b32_e32 v9, 4, v0
	ds_bpermute_b32 v12, v8, v11
	v_cmp_eq_u32_e64 s3, 0, v10
	s_and_saveexec_b32 s4, s3
	s_cbranch_execz .LBB10_4
; %bb.3:
	s_wait_dscnt 0x0
	v_add_f32_e32 v11, v11, v12
	ds_store_b32 v9, v11
.LBB10_4:
	s_or_b32 exec_lo, exec_lo, s4
	s_wait_dscnt 0x0
	s_barrier_signal -1
	s_barrier_wait -1
	global_inv scope:SCOPE_SE
	s_load_b32 s4, s[0:1], 0x3c
	v_dual_mov_b32 v11, 0 :: v_dual_lshlrev_b32 v10, 2, v10
	s_wait_kmcnt 0x0
	s_bfe_u32 s4, s4, 0xa0006
	s_delay_alu instid0(SALU_CYCLE_1)
	v_cmp_gt_u32_e64 s4, s4, v0
	s_and_saveexec_b32 s5, s4
; %bb.5:
	ds_load_b32 v11, v10
; %bb.6:
	s_wait_alu 0xfffe
	s_or_b32 exec_lo, exec_lo, s5
	s_wait_dscnt 0x0
	ds_bpermute_b32 v12, v3, v11
	v_cmp_eq_u32_e64 s5, 0, v0
	s_cvt_f32_i32 s10, s9
	s_wait_dscnt 0x0
	v_add_f32_e32 v11, v11, v12
	ds_bpermute_b32 v12, v4, v11
	s_wait_dscnt 0x0
	v_add_f32_e32 v11, v11, v12
	ds_bpermute_b32 v12, v5, v11
	;; [unrolled: 3-line block ×5, first 2 shown]
	s_and_saveexec_b32 s11, s5
	s_cbranch_execz .LBB10_8
; %bb.7:
	s_wait_dscnt 0x0
	v_add_f32_e32 v11, v11, v12
	s_delay_alu instid0(VALU_DEP_1) | instskip(SKIP_1) | instid1(VALU_DEP_2)
	v_div_scale_f32 v12, null, s10, s10, v11
	v_div_scale_f32 v15, vcc_lo, v11, s10, v11
	v_rcp_f32_e32 v13, v12
	s_delay_alu instid0(TRANS32_DEP_1) | instskip(NEXT) | instid1(VALU_DEP_1)
	v_fma_f32 v14, -v12, v13, 1.0
	v_fmac_f32_e32 v13, v14, v13
	s_delay_alu instid0(VALU_DEP_1) | instskip(NEXT) | instid1(VALU_DEP_1)
	v_mul_f32_e32 v14, v15, v13
	v_fma_f32 v16, -v12, v14, v15
	s_delay_alu instid0(VALU_DEP_1) | instskip(NEXT) | instid1(VALU_DEP_1)
	v_fmac_f32_e32 v14, v16, v13
	v_fma_f32 v12, -v12, v14, v15
	s_wait_alu 0xfffd
	s_delay_alu instid0(VALU_DEP_1) | instskip(NEXT) | instid1(VALU_DEP_1)
	v_div_fmas_f32 v12, v12, v13, v14
	v_div_fixup_f32 v11, v12, s10, v11
	v_mov_b32_e32 v12, 0
	ds_store_b32 v12, v11 offset:68
.LBB10_8:
	s_or_b32 exec_lo, exec_lo, s11
	v_mov_b32_e32 v11, 0
	s_wait_loadcnt_dscnt 0x0
	s_barrier_signal -1
	s_barrier_wait -1
	global_inv scope:SCOPE_SE
	ds_load_b32 v12, v11 offset:68
	s_wait_dscnt 0x0
	v_sub_f32_e32 v12, v2, v12
	s_delay_alu instid0(VALU_DEP_1) | instskip(NEXT) | instid1(VALU_DEP_1)
	v_mul_f32_e32 v12, v12, v12
	v_cndmask_b32_e64 v12, 0, v12, s2
	ds_bpermute_b32 v13, v3, v12
	s_wait_dscnt 0x0
	v_add_f32_e32 v12, v12, v13
	ds_bpermute_b32 v13, v4, v12
	s_wait_dscnt 0x0
	v_add_f32_e32 v12, v12, v13
	;; [unrolled: 3-line block ×5, first 2 shown]
	ds_bpermute_b32 v13, v8, v12
	s_and_saveexec_b32 s11, s3
	s_cbranch_execz .LBB10_10
; %bb.9:
	s_wait_dscnt 0x0
	v_add_f32_e32 v12, v12, v13
	ds_store_b32 v9, v12
.LBB10_10:
	s_wait_alu 0xfffe
	s_or_b32 exec_lo, exec_lo, s11
	s_wait_loadcnt_dscnt 0x0
	s_barrier_signal -1
	s_barrier_wait -1
	global_inv scope:SCOPE_SE
	s_and_saveexec_b32 s3, s4
; %bb.11:
	ds_load_b32 v11, v10
; %bb.12:
	s_wait_alu 0xfffe
	s_or_b32 exec_lo, exec_lo, s3
	s_wait_dscnt 0x0
	ds_bpermute_b32 v3, v3, v11
	s_wait_dscnt 0x0
	v_add_f32_e32 v3, v11, v3
	ds_bpermute_b32 v4, v4, v3
	s_wait_dscnt 0x0
	v_add_f32_e32 v3, v3, v4
	;; [unrolled: 3-line block ×5, first 2 shown]
	ds_bpermute_b32 v4, v8, v3
	s_and_saveexec_b32 s3, s5
	s_cbranch_execz .LBB10_14
; %bb.13:
	s_wait_dscnt 0x0
	v_add_f32_e32 v3, v3, v4
	s_delay_alu instid0(VALU_DEP_1) | instskip(SKIP_1) | instid1(VALU_DEP_2)
	v_div_scale_f32 v4, null, s10, s10, v3
	v_div_scale_f32 v7, vcc_lo, v3, s10, v3
	v_rcp_f32_e32 v5, v4
	s_delay_alu instid0(TRANS32_DEP_1) | instskip(NEXT) | instid1(VALU_DEP_1)
	v_fma_f32 v6, -v4, v5, 1.0
	v_fmac_f32_e32 v5, v6, v5
	s_delay_alu instid0(VALU_DEP_1) | instskip(NEXT) | instid1(VALU_DEP_1)
	v_mul_f32_e32 v6, v7, v5
	v_fma_f32 v8, -v4, v6, v7
	s_delay_alu instid0(VALU_DEP_1) | instskip(NEXT) | instid1(VALU_DEP_1)
	v_fmac_f32_e32 v6, v8, v5
	v_fma_f32 v4, -v4, v6, v7
	s_wait_alu 0xfffd
	s_delay_alu instid0(VALU_DEP_1) | instskip(NEXT) | instid1(VALU_DEP_1)
	v_div_fmas_f32 v4, v4, v5, v6
	v_div_fixup_f32 v3, v4, s10, v3
	s_delay_alu instid0(VALU_DEP_1)
	v_dual_mov_b32 v4, 0 :: v_dual_add_f32 v3, s8, v3
	ds_store_b32 v4, v3 offset:64
.LBB10_14:
	s_wait_alu 0xfffe
	s_or_b32 exec_lo, exec_lo, s3
	s_wait_loadcnt_dscnt 0x0
	s_barrier_signal -1
	s_barrier_wait -1
	global_inv scope:SCOPE_SE
	s_and_saveexec_b32 s3, s2
	s_cbranch_execz .LBB10_16
; %bb.15:
	s_load_b128 s[0:3], s[0:1], 0x18
	v_mov_b32_e32 v7, 0
	s_wait_kmcnt 0x0
	s_clause 0x1
	global_load_u16 v5, v1, s[0:1]
	global_load_u16 v6, v1, s[2:3]
	ds_load_b64 v[3:4], v7 offset:64
	v_mad_co_u64_u32 v[0:1], null, s9, ttmp9, v[0:1]
	s_wait_dscnt 0x0
	v_readfirstlane_b32 s0, v3
	v_sub_f32_e32 v2, v2, v4
	s_cmp_lt_f32 s0, 0x800000
	s_mul_f32 s1, s0, 0x4b800000
	s_wait_alu 0xfffe
	s_delay_alu instid0(SALU_CYCLE_2) | instskip(SKIP_2) | instid1(TRANS32_DEP_1)
	s_cselect_b32 s0, s1, s0
	s_wait_alu 0xfffe
	v_s_rsq_f32 s0, s0
	s_mul_f32 s1, s0, 0x45800000
	s_wait_alu 0xfffe
	s_delay_alu instid0(SALU_CYCLE_2) | instskip(SKIP_2) | instid1(VALU_DEP_1)
	s_cselect_b32 s0, s1, s0
	s_wait_alu 0xfffe
	v_dual_mov_b32 v1, v7 :: v_dual_mul_f32 v2, s0, v2
	v_lshlrev_b64_e32 v[0:1], 1, v[0:1]
	s_delay_alu instid0(VALU_DEP_1) | instskip(SKIP_1) | instid1(VALU_DEP_2)
	v_add_co_u32 v0, vcc_lo, s6, v0
	s_wait_alu 0xfffd
	v_add_co_ci_u32_e64 v1, null, s7, v1, vcc_lo
	s_wait_loadcnt 0x0
	v_fma_mixlo_f16 v2, v2, v5, v6 op_sel_hi:[0,1,1]
	global_store_b16 v[0:1], v2, off
.LBB10_16:
	s_endpgm
	.section	.rodata,"a",@progbits
	.p2align	6, 0x0
	.amdhsa_kernel _Z28addBiasResidualPostLayerNormI6__halfLi1ELi64EEvPT_PKS1_S4_S4_S4_fi
		.amdhsa_group_segment_fixed_size 72
		.amdhsa_private_segment_fixed_size 0
		.amdhsa_kernarg_size 304
		.amdhsa_user_sgpr_count 2
		.amdhsa_user_sgpr_dispatch_ptr 0
		.amdhsa_user_sgpr_queue_ptr 0
		.amdhsa_user_sgpr_kernarg_segment_ptr 1
		.amdhsa_user_sgpr_dispatch_id 0
		.amdhsa_user_sgpr_private_segment_size 0
		.amdhsa_wavefront_size32 1
		.amdhsa_uses_dynamic_stack 0
		.amdhsa_enable_private_segment 0
		.amdhsa_system_sgpr_workgroup_id_x 1
		.amdhsa_system_sgpr_workgroup_id_y 0
		.amdhsa_system_sgpr_workgroup_id_z 0
		.amdhsa_system_sgpr_workgroup_info 0
		.amdhsa_system_vgpr_workitem_id 0
		.amdhsa_next_free_vgpr 17
		.amdhsa_next_free_sgpr 16
		.amdhsa_reserve_vcc 1
		.amdhsa_float_round_mode_32 0
		.amdhsa_float_round_mode_16_64 0
		.amdhsa_float_denorm_mode_32 3
		.amdhsa_float_denorm_mode_16_64 3
		.amdhsa_fp16_overflow 0
		.amdhsa_workgroup_processor_mode 1
		.amdhsa_memory_ordered 1
		.amdhsa_forward_progress 1
		.amdhsa_inst_pref_size 12
		.amdhsa_round_robin_scheduling 0
		.amdhsa_exception_fp_ieee_invalid_op 0
		.amdhsa_exception_fp_denorm_src 0
		.amdhsa_exception_fp_ieee_div_zero 0
		.amdhsa_exception_fp_ieee_overflow 0
		.amdhsa_exception_fp_ieee_underflow 0
		.amdhsa_exception_fp_ieee_inexact 0
		.amdhsa_exception_int_div_zero 0
	.end_amdhsa_kernel
	.section	.text._Z28addBiasResidualPostLayerNormI6__halfLi1ELi64EEvPT_PKS1_S4_S4_S4_fi,"axG",@progbits,_Z28addBiasResidualPostLayerNormI6__halfLi1ELi64EEvPT_PKS1_S4_S4_S4_fi,comdat
.Lfunc_end10:
	.size	_Z28addBiasResidualPostLayerNormI6__halfLi1ELi64EEvPT_PKS1_S4_S4_S4_fi, .Lfunc_end10-_Z28addBiasResidualPostLayerNormI6__halfLi1ELi64EEvPT_PKS1_S4_S4_S4_fi
                                        ; -- End function
	.set _Z28addBiasResidualPostLayerNormI6__halfLi1ELi64EEvPT_PKS1_S4_S4_S4_fi.num_vgpr, 17
	.set _Z28addBiasResidualPostLayerNormI6__halfLi1ELi64EEvPT_PKS1_S4_S4_S4_fi.num_agpr, 0
	.set _Z28addBiasResidualPostLayerNormI6__halfLi1ELi64EEvPT_PKS1_S4_S4_S4_fi.numbered_sgpr, 16
	.set _Z28addBiasResidualPostLayerNormI6__halfLi1ELi64EEvPT_PKS1_S4_S4_S4_fi.num_named_barrier, 0
	.set _Z28addBiasResidualPostLayerNormI6__halfLi1ELi64EEvPT_PKS1_S4_S4_S4_fi.private_seg_size, 0
	.set _Z28addBiasResidualPostLayerNormI6__halfLi1ELi64EEvPT_PKS1_S4_S4_S4_fi.uses_vcc, 1
	.set _Z28addBiasResidualPostLayerNormI6__halfLi1ELi64EEvPT_PKS1_S4_S4_S4_fi.uses_flat_scratch, 0
	.set _Z28addBiasResidualPostLayerNormI6__halfLi1ELi64EEvPT_PKS1_S4_S4_S4_fi.has_dyn_sized_stack, 0
	.set _Z28addBiasResidualPostLayerNormI6__halfLi1ELi64EEvPT_PKS1_S4_S4_S4_fi.has_recursion, 0
	.set _Z28addBiasResidualPostLayerNormI6__halfLi1ELi64EEvPT_PKS1_S4_S4_S4_fi.has_indirect_call, 0
	.section	.AMDGPU.csdata,"",@progbits
; Kernel info:
; codeLenInByte = 1472
; TotalNumSgprs: 18
; NumVgprs: 17
; ScratchSize: 0
; MemoryBound: 0
; FloatMode: 240
; IeeeMode: 1
; LDSByteSize: 72 bytes/workgroup (compile time only)
; SGPRBlocks: 0
; VGPRBlocks: 2
; NumSGPRsForWavesPerEU: 18
; NumVGPRsForWavesPerEU: 17
; Occupancy: 16
; WaveLimiterHint : 0
; COMPUTE_PGM_RSRC2:SCRATCH_EN: 0
; COMPUTE_PGM_RSRC2:USER_SGPR: 2
; COMPUTE_PGM_RSRC2:TRAP_HANDLER: 0
; COMPUTE_PGM_RSRC2:TGID_X_EN: 1
; COMPUTE_PGM_RSRC2:TGID_Y_EN: 0
; COMPUTE_PGM_RSRC2:TGID_Z_EN: 0
; COMPUTE_PGM_RSRC2:TIDIG_COMP_CNT: 0
	.section	.text._Z28addBiasResidualPostLayerNormI6__halfLi2ELi64EEvPT_PKS1_S4_S4_S4_fi,"axG",@progbits,_Z28addBiasResidualPostLayerNormI6__halfLi2ELi64EEvPT_PKS1_S4_S4_S4_fi,comdat
	.protected	_Z28addBiasResidualPostLayerNormI6__halfLi2ELi64EEvPT_PKS1_S4_S4_S4_fi ; -- Begin function _Z28addBiasResidualPostLayerNormI6__halfLi2ELi64EEvPT_PKS1_S4_S4_S4_fi
	.globl	_Z28addBiasResidualPostLayerNormI6__halfLi2ELi64EEvPT_PKS1_S4_S4_S4_fi
	.p2align	8
	.type	_Z28addBiasResidualPostLayerNormI6__halfLi2ELi64EEvPT_PKS1_S4_S4_S4_fi,@function
_Z28addBiasResidualPostLayerNormI6__halfLi2ELi64EEvPT_PKS1_S4_S4_S4_fi: ; @_Z28addBiasResidualPostLayerNormI6__halfLi2ELi64EEvPT_PKS1_S4_S4_S4_fi
; %bb.0:
	s_clause 0x1
	s_load_b64 s[10:11], s[0:1], 0x28
	s_load_b64 s[8:9], s[0:1], 0x0
	v_dual_mov_b32 v6, 0 :: v_dual_mov_b32 v3, 0
	s_delay_alu instid0(VALU_DEP_1)
	v_dual_mov_b32 v2, v6 :: v_dual_lshlrev_b32 v7, 1, v0
	s_wait_kmcnt 0x0
	s_mul_i32 s12, s11, ttmp9
	v_cmp_gt_i32_e64 s2, s11, v0
	v_add_nc_u32_e32 v1, s12, v0
	s_and_saveexec_b32 s3, s2
	s_cbranch_execz .LBB11_4
; %bb.1:
	s_clause 0x1
	s_load_b128 s[4:7], s[0:1], 0x8
	s_load_b32 s13, s[0:1], 0x3c
	v_mov_b32_e32 v2, 0
	s_delay_alu instid0(VALU_DEP_1) | instskip(NEXT) | instid1(VALU_DEP_1)
	v_lshlrev_b64_e32 v[3:4], 1, v[1:2]
	v_add_co_u32 v5, vcc_lo, s8, v3
	s_delay_alu instid0(VALU_DEP_1)
	v_add_co_ci_u32_e64 v6, null, s9, v4, vcc_lo
	s_wait_kmcnt 0x0
	v_add_co_u32 v3, vcc_lo, s4, v3
	s_wait_alu 0xfffd
	v_add_co_ci_u32_e64 v4, null, s5, v4, vcc_lo
	s_and_b32 s14, s13, 0xffff
	s_mov_b32 s13, exec_lo
	global_load_u16 v5, v[5:6], off
	global_load_u16 v3, v[3:4], off
	global_load_u16 v4, v7, s[6:7]
	s_wait_loadcnt 0x1
	v_add_f16_e32 v3, v5, v3
	s_wait_loadcnt 0x0
	s_delay_alu instid0(VALU_DEP_1) | instskip(SKIP_1) | instid1(VALU_DEP_2)
	v_add_f16_e32 v3, v3, v4
	v_add_nc_u32_e32 v4, s14, v0
	v_cvt_f32_f16_e32 v3, v3
	s_delay_alu instid0(VALU_DEP_1) | instskip(NEXT) | instid1(VALU_DEP_3)
	v_add_f32_e32 v6, 0, v3
	v_cmpx_gt_u32_e64 s11, v4
	s_cbranch_execz .LBB11_3
; %bb.2:
	v_dual_mov_b32 v5, 0 :: v_dual_add_nc_u32 v4, s12, v4
	s_delay_alu instid0(VALU_DEP_1) | instskip(NEXT) | instid1(VALU_DEP_1)
	v_lshlrev_b64_e32 v[4:5], 1, v[4:5]
	v_add_co_u32 v8, vcc_lo, s8, v4
	s_wait_alu 0xfffd
	s_delay_alu instid0(VALU_DEP_2)
	v_add_co_ci_u32_e64 v9, null, s9, v5, vcc_lo
	v_add_co_u32 v4, vcc_lo, s4, v4
	v_add_co_u32 v2, s4, s6, v7
	s_wait_alu 0xfffd
	v_add_co_ci_u32_e64 v5, null, s5, v5, vcc_lo
	s_wait_alu 0xf1ff
	v_add_co_ci_u32_e64 v10, null, s7, 0, s4
	s_lshl_b32 s4, s14, 1
	global_load_u16 v8, v[8:9], off
	global_load_u16 v9, v[4:5], off
	s_wait_alu 0xfffe
	v_add_co_u32 v4, vcc_lo, v2, s4
	s_wait_alu 0xfffd
	v_add_co_ci_u32_e64 v5, null, 0, v10, vcc_lo
	global_load_u16 v2, v[4:5], off
	s_wait_loadcnt 0x1
	v_add_f16_e32 v4, v8, v9
	s_wait_loadcnt 0x0
	s_delay_alu instid0(VALU_DEP_1) | instskip(NEXT) | instid1(VALU_DEP_1)
	v_add_f16_e32 v2, v4, v2
	v_cvt_f32_f16_e32 v2, v2
	s_delay_alu instid0(VALU_DEP_1)
	v_add_f32_e32 v6, v6, v2
.LBB11_3:
	s_wait_alu 0xfffe
	s_or_b32 exec_lo, exec_lo, s13
.LBB11_4:
	s_delay_alu instid0(SALU_CYCLE_1) | instskip(SKIP_1) | instid1(VALU_DEP_1)
	s_or_b32 exec_lo, exec_lo, s3
	v_mbcnt_lo_u32_b32 v10, -1, 0
	v_or_b32_e32 v4, 32, v10
	v_xor_b32_e32 v5, 16, v10
	v_xor_b32_e32 v13, 1, v10
	s_delay_alu instid0(VALU_DEP_3)
	v_cmp_gt_i32_e32 vcc_lo, 64, v4
	s_wait_alu 0xfffd
	v_cndmask_b32_e32 v4, v10, v4, vcc_lo
	v_cmp_gt_i32_e32 vcc_lo, 64, v5
	s_wait_alu 0xfffd
	v_cndmask_b32_e32 v5, v10, v5, vcc_lo
	s_delay_alu instid0(VALU_DEP_1)
	v_lshlrev_b32_e32 v5, 2, v5
	v_lshlrev_b32_e32 v4, 2, v4
	ds_bpermute_b32 v8, v4, v6
	s_wait_dscnt 0x0
	v_add_f32_e32 v8, v6, v8
	v_xor_b32_e32 v6, 8, v10
	ds_bpermute_b32 v9, v5, v8
	v_cmp_gt_i32_e32 vcc_lo, 64, v6
	s_wait_alu 0xfffd
	v_cndmask_b32_e32 v6, v10, v6, vcc_lo
	s_wait_dscnt 0x0
	s_delay_alu instid0(VALU_DEP_1)
	v_dual_add_f32 v9, v8, v9 :: v_dual_lshlrev_b32 v6, 2, v6
	v_xor_b32_e32 v8, 4, v10
	ds_bpermute_b32 v11, v6, v9
	v_cmp_gt_i32_e32 vcc_lo, 64, v8
	s_wait_dscnt 0x0
	s_wait_alu 0xfffd
	v_dual_cndmask_b32 v8, v10, v8 :: v_dual_add_f32 v11, v9, v11
	v_xor_b32_e32 v9, 2, v10
	s_delay_alu instid0(VALU_DEP_1) | instskip(SKIP_1) | instid1(VALU_DEP_3)
	v_cmp_gt_i32_e32 vcc_lo, 64, v9
	s_wait_alu 0xfffd
	v_dual_cndmask_b32 v9, v10, v9 :: v_dual_lshlrev_b32 v8, 2, v8
	ds_bpermute_b32 v12, v8, v11
	v_cmp_gt_i32_e32 vcc_lo, 64, v13
	v_lshlrev_b32_e32 v9, 2, v9
	s_wait_alu 0xfffd
	v_cndmask_b32_e32 v10, v10, v13, vcc_lo
	s_wait_dscnt 0x0
	s_delay_alu instid0(VALU_DEP_1)
	v_dual_add_f32 v11, v11, v12 :: v_dual_lshlrev_b32 v10, 2, v10
	ds_bpermute_b32 v12, v9, v11
	s_wait_dscnt 0x0
	v_add_f32_e32 v13, v11, v12
	v_and_b32_e32 v12, 63, v0
	v_lshrrev_b32_e32 v11, 4, v0
	ds_bpermute_b32 v14, v10, v13
	v_cmp_eq_u32_e64 s3, 0, v12
	s_and_saveexec_b32 s4, s3
	s_cbranch_execz .LBB11_6
; %bb.5:
	s_wait_dscnt 0x0
	v_add_f32_e32 v13, v13, v14
	ds_store_b32 v11, v13
.LBB11_6:
	s_wait_alu 0xfffe
	s_or_b32 exec_lo, exec_lo, s4
	s_wait_dscnt 0x0
	s_barrier_signal -1
	s_barrier_wait -1
	global_inv scope:SCOPE_SE
	s_load_b32 s6, s[0:1], 0x3c
	v_dual_mov_b32 v13, 0 :: v_dual_lshlrev_b32 v12, 2, v12
	s_wait_kmcnt 0x0
	s_bfe_u32 s4, s6, 0xa0006
	s_wait_alu 0xfffe
	v_cmp_gt_u32_e64 s4, s4, v0
	s_and_saveexec_b32 s5, s4
; %bb.7:
	ds_load_b32 v13, v12
; %bb.8:
	s_wait_alu 0xfffe
	s_or_b32 exec_lo, exec_lo, s5
	s_wait_dscnt 0x0
	ds_bpermute_b32 v14, v4, v13
	v_cmp_eq_u32_e64 s5, 0, v0
	s_cvt_f32_i32 s7, s11
	s_wait_dscnt 0x0
	v_add_f32_e32 v13, v13, v14
	ds_bpermute_b32 v14, v5, v13
	s_wait_dscnt 0x0
	v_add_f32_e32 v13, v13, v14
	ds_bpermute_b32 v14, v6, v13
	;; [unrolled: 3-line block ×5, first 2 shown]
	s_and_saveexec_b32 s13, s5
	s_cbranch_execz .LBB11_10
; %bb.9:
	s_wait_dscnt 0x0
	v_add_f32_e32 v13, v13, v14
	s_wait_alu 0xfffe
	s_delay_alu instid0(VALU_DEP_1) | instskip(SKIP_1) | instid1(VALU_DEP_2)
	v_div_scale_f32 v14, null, s7, s7, v13
	v_div_scale_f32 v17, vcc_lo, v13, s7, v13
	v_rcp_f32_e32 v15, v14
	s_delay_alu instid0(TRANS32_DEP_1) | instskip(NEXT) | instid1(VALU_DEP_1)
	v_fma_f32 v16, -v14, v15, 1.0
	v_fmac_f32_e32 v15, v16, v15
	s_delay_alu instid0(VALU_DEP_1) | instskip(NEXT) | instid1(VALU_DEP_1)
	v_mul_f32_e32 v16, v17, v15
	v_fma_f32 v18, -v14, v16, v17
	s_delay_alu instid0(VALU_DEP_1) | instskip(NEXT) | instid1(VALU_DEP_1)
	v_fmac_f32_e32 v16, v18, v15
	v_fma_f32 v14, -v14, v16, v17
	s_wait_alu 0xfffd
	s_delay_alu instid0(VALU_DEP_1) | instskip(NEXT) | instid1(VALU_DEP_1)
	v_div_fmas_f32 v14, v14, v15, v16
	v_div_fixup_f32 v13, v14, s7, v13
	v_mov_b32_e32 v14, 0
	ds_store_b32 v14, v13 offset:68
.LBB11_10:
	s_wait_alu 0xfffe
	s_or_b32 exec_lo, exec_lo, s13
	s_and_b32 s6, 0xffff, s6
	s_wait_alu 0xfffe
	v_dual_mov_b32 v13, 0 :: v_dual_add_nc_u32 v0, s6, v0
	s_wait_loadcnt_dscnt 0x0
	s_barrier_signal -1
	s_barrier_wait -1
	global_inv scope:SCOPE_SE
	s_and_saveexec_b32 s13, s2
	s_cbranch_execz .LBB11_12
; %bb.11:
	v_mov_b32_e32 v13, 0
	v_cmp_gt_u32_e32 vcc_lo, s11, v0
	ds_load_b32 v13, v13 offset:68
	s_wait_dscnt 0x0
	v_sub_f32_e32 v14, v3, v13
	v_sub_f32_e32 v13, v2, v13
	s_delay_alu instid0(VALU_DEP_2) | instskip(NEXT) | instid1(VALU_DEP_1)
	v_mul_f32_e32 v14, v14, v14
	v_fma_f32 v13, v13, v13, v14
	s_wait_alu 0xfffd
	s_delay_alu instid0(VALU_DEP_1)
	v_cndmask_b32_e32 v13, v14, v13, vcc_lo
.LBB11_12:
	s_wait_alu 0xfffe
	s_or_b32 exec_lo, exec_lo, s13
	ds_bpermute_b32 v14, v4, v13
	s_wait_dscnt 0x0
	v_add_f32_e32 v13, v13, v14
	ds_bpermute_b32 v14, v5, v13
	s_wait_dscnt 0x0
	v_add_f32_e32 v13, v13, v14
	ds_bpermute_b32 v14, v6, v13
	s_wait_dscnt 0x0
	v_add_f32_e32 v13, v13, v14
	ds_bpermute_b32 v14, v8, v13
	s_wait_dscnt 0x0
	v_add_f32_e32 v13, v13, v14
	ds_bpermute_b32 v14, v9, v13
	s_wait_dscnt 0x0
	v_add_f32_e32 v13, v13, v14
	ds_bpermute_b32 v14, v10, v13
	s_and_saveexec_b32 s13, s3
	s_cbranch_execz .LBB11_14
; %bb.13:
	s_wait_dscnt 0x0
	v_add_f32_e32 v13, v13, v14
	ds_store_b32 v11, v13
.LBB11_14:
	s_wait_alu 0xfffe
	s_or_b32 exec_lo, exec_lo, s13
	v_mov_b32_e32 v11, 0
	s_wait_loadcnt_dscnt 0x0
	s_barrier_signal -1
	s_barrier_wait -1
	global_inv scope:SCOPE_SE
	s_and_saveexec_b32 s3, s4
; %bb.15:
	ds_load_b32 v11, v12
; %bb.16:
	s_or_b32 exec_lo, exec_lo, s3
	s_wait_dscnt 0x0
	ds_bpermute_b32 v4, v4, v11
	s_wait_dscnt 0x0
	v_add_f32_e32 v4, v11, v4
	ds_bpermute_b32 v5, v5, v4
	s_wait_dscnt 0x0
	v_add_f32_e32 v4, v4, v5
	;; [unrolled: 3-line block ×5, first 2 shown]
	ds_bpermute_b32 v5, v10, v4
	s_and_saveexec_b32 s3, s5
	s_cbranch_execz .LBB11_18
; %bb.17:
	s_wait_dscnt 0x0
	v_add_f32_e32 v4, v4, v5
	s_delay_alu instid0(VALU_DEP_1) | instskip(SKIP_1) | instid1(VALU_DEP_2)
	v_div_scale_f32 v5, null, s7, s7, v4
	v_div_scale_f32 v9, vcc_lo, v4, s7, v4
	v_rcp_f32_e32 v6, v5
	s_delay_alu instid0(TRANS32_DEP_1) | instskip(NEXT) | instid1(VALU_DEP_1)
	v_fma_f32 v8, -v5, v6, 1.0
	v_fmac_f32_e32 v6, v8, v6
	s_delay_alu instid0(VALU_DEP_1) | instskip(NEXT) | instid1(VALU_DEP_1)
	v_mul_f32_e32 v8, v9, v6
	v_fma_f32 v10, -v5, v8, v9
	s_delay_alu instid0(VALU_DEP_1) | instskip(NEXT) | instid1(VALU_DEP_1)
	v_fmac_f32_e32 v8, v10, v6
	v_fma_f32 v5, -v5, v8, v9
	s_wait_alu 0xfffd
	s_delay_alu instid0(VALU_DEP_1) | instskip(NEXT) | instid1(VALU_DEP_1)
	v_div_fmas_f32 v5, v5, v6, v8
	v_div_fixup_f32 v4, v5, s7, v4
	s_delay_alu instid0(VALU_DEP_1)
	v_dual_mov_b32 v5, 0 :: v_dual_add_f32 v4, s10, v4
	ds_store_b32 v5, v4 offset:64
.LBB11_18:
	s_or_b32 exec_lo, exec_lo, s3
	s_wait_loadcnt_dscnt 0x0
	s_barrier_signal -1
	s_barrier_wait -1
	global_inv scope:SCOPE_SE
	s_and_saveexec_b32 s3, s2
	s_cbranch_execz .LBB11_21
; %bb.19:
	s_load_b128 s[0:3], s[0:1], 0x18
	v_mov_b32_e32 v4, 0
	s_wait_kmcnt 0x0
	s_clause 0x1
	global_load_u16 v10, v7, s[0:1]
	global_load_u16 v11, v7, s[2:3]
	ds_load_b64 v[5:6], v4 offset:64
	s_wait_dscnt 0x0
	v_readfirstlane_b32 s4, v5
	v_sub_f32_e32 v5, v3, v6
	v_mov_b32_e32 v3, v1
	s_cmp_lt_f32 s4, 0x800000
	s_mul_f32 s5, s4, 0x4b800000
	s_delay_alu instid0(VALU_DEP_1) | instskip(SKIP_1) | instid1(SALU_CYCLE_1)
	v_lshlrev_b64_e32 v[8:9], 1, v[3:4]
	s_wait_alu 0xfffe
	s_cselect_b32 s4, s5, s4
	s_wait_alu 0xfffe
	v_s_rsq_f32 s4, s4
	s_delay_alu instid0(VALU_DEP_1) | instskip(SKIP_3) | instid1(TRANS32_DEP_1)
	v_add_co_u32 v8, vcc_lo, s8, v8
	s_wait_alu 0xfffd
	v_add_co_ci_u32_e64 v9, null, s9, v9, vcc_lo
	v_cmp_gt_u32_e32 vcc_lo, s11, v0
	s_mul_f32 s5, s4, 0x45800000
	s_wait_alu 0xfffe
	s_delay_alu instid0(SALU_CYCLE_2) | instskip(SKIP_3) | instid1(VALU_DEP_1)
	s_cselect_b32 s4, s5, s4
	s_wait_alu 0xfffe
	v_mul_f32_e32 v1, s4, v5
	s_wait_loadcnt 0x0
	v_fma_mixlo_f16 v1, v1, v10, v11 op_sel_hi:[0,1,1]
	global_store_b16 v[8:9], v1, off
	s_and_b32 exec_lo, exec_lo, vcc_lo
	s_cbranch_execz .LBB11_21
; %bb.20:
	v_add_co_u32 v1, s0, s0, v7
	s_wait_alu 0xf1ff
	v_add_co_ci_u32_e64 v3, null, s1, 0, s0
	v_add_co_u32 v5, s0, s2, v7
	s_wait_alu 0xf1ff
	v_add_co_ci_u32_e64 v10, null, s3, 0, s0
	s_lshl_b32 s0, s6, 1
	s_wait_alu 0xfffe
	v_add_co_u32 v7, vcc_lo, v1, s0
	s_wait_alu 0xfffd
	v_add_co_ci_u32_e64 v8, null, 0, v3, vcc_lo
	v_add_co_u32 v9, vcc_lo, v5, s0
	s_wait_alu 0xfffd
	v_add_co_ci_u32_e64 v10, null, 0, v10, vcc_lo
	global_load_u16 v5, v[7:8], off
	global_load_u16 v7, v[9:10], off
	v_sub_f32_e32 v1, v2, v6
	s_delay_alu instid0(VALU_DEP_1) | instskip(NEXT) | instid1(VALU_DEP_1)
	v_dual_mul_f32 v2, s4, v1 :: v_dual_add_nc_u32 v3, s12, v0
	v_lshlrev_b64_e32 v[0:1], 1, v[3:4]
	s_delay_alu instid0(VALU_DEP_1) | instskip(SKIP_1) | instid1(VALU_DEP_2)
	v_add_co_u32 v0, vcc_lo, s8, v0
	s_wait_alu 0xfffd
	v_add_co_ci_u32_e64 v1, null, s9, v1, vcc_lo
	s_wait_loadcnt 0x0
	v_fma_mixlo_f16 v2, v2, v5, v7 op_sel_hi:[0,1,1]
	global_store_b16 v[0:1], v2, off
.LBB11_21:
	s_endpgm
	.section	.rodata,"a",@progbits
	.p2align	6, 0x0
	.amdhsa_kernel _Z28addBiasResidualPostLayerNormI6__halfLi2ELi64EEvPT_PKS1_S4_S4_S4_fi
		.amdhsa_group_segment_fixed_size 72
		.amdhsa_private_segment_fixed_size 0
		.amdhsa_kernarg_size 304
		.amdhsa_user_sgpr_count 2
		.amdhsa_user_sgpr_dispatch_ptr 0
		.amdhsa_user_sgpr_queue_ptr 0
		.amdhsa_user_sgpr_kernarg_segment_ptr 1
		.amdhsa_user_sgpr_dispatch_id 0
		.amdhsa_user_sgpr_private_segment_size 0
		.amdhsa_wavefront_size32 1
		.amdhsa_uses_dynamic_stack 0
		.amdhsa_enable_private_segment 0
		.amdhsa_system_sgpr_workgroup_id_x 1
		.amdhsa_system_sgpr_workgroup_id_y 0
		.amdhsa_system_sgpr_workgroup_id_z 0
		.amdhsa_system_sgpr_workgroup_info 0
		.amdhsa_system_vgpr_workitem_id 0
		.amdhsa_next_free_vgpr 19
		.amdhsa_next_free_sgpr 15
		.amdhsa_reserve_vcc 1
		.amdhsa_float_round_mode_32 0
		.amdhsa_float_round_mode_16_64 0
		.amdhsa_float_denorm_mode_32 3
		.amdhsa_float_denorm_mode_16_64 3
		.amdhsa_fp16_overflow 0
		.amdhsa_workgroup_processor_mode 1
		.amdhsa_memory_ordered 1
		.amdhsa_forward_progress 1
		.amdhsa_inst_pref_size 16
		.amdhsa_round_robin_scheduling 0
		.amdhsa_exception_fp_ieee_invalid_op 0
		.amdhsa_exception_fp_denorm_src 0
		.amdhsa_exception_fp_ieee_div_zero 0
		.amdhsa_exception_fp_ieee_overflow 0
		.amdhsa_exception_fp_ieee_underflow 0
		.amdhsa_exception_fp_ieee_inexact 0
		.amdhsa_exception_int_div_zero 0
	.end_amdhsa_kernel
	.section	.text._Z28addBiasResidualPostLayerNormI6__halfLi2ELi64EEvPT_PKS1_S4_S4_S4_fi,"axG",@progbits,_Z28addBiasResidualPostLayerNormI6__halfLi2ELi64EEvPT_PKS1_S4_S4_S4_fi,comdat
.Lfunc_end11:
	.size	_Z28addBiasResidualPostLayerNormI6__halfLi2ELi64EEvPT_PKS1_S4_S4_S4_fi, .Lfunc_end11-_Z28addBiasResidualPostLayerNormI6__halfLi2ELi64EEvPT_PKS1_S4_S4_S4_fi
                                        ; -- End function
	.set _Z28addBiasResidualPostLayerNormI6__halfLi2ELi64EEvPT_PKS1_S4_S4_S4_fi.num_vgpr, 19
	.set _Z28addBiasResidualPostLayerNormI6__halfLi2ELi64EEvPT_PKS1_S4_S4_S4_fi.num_agpr, 0
	.set _Z28addBiasResidualPostLayerNormI6__halfLi2ELi64EEvPT_PKS1_S4_S4_S4_fi.numbered_sgpr, 15
	.set _Z28addBiasResidualPostLayerNormI6__halfLi2ELi64EEvPT_PKS1_S4_S4_S4_fi.num_named_barrier, 0
	.set _Z28addBiasResidualPostLayerNormI6__halfLi2ELi64EEvPT_PKS1_S4_S4_S4_fi.private_seg_size, 0
	.set _Z28addBiasResidualPostLayerNormI6__halfLi2ELi64EEvPT_PKS1_S4_S4_S4_fi.uses_vcc, 1
	.set _Z28addBiasResidualPostLayerNormI6__halfLi2ELi64EEvPT_PKS1_S4_S4_S4_fi.uses_flat_scratch, 0
	.set _Z28addBiasResidualPostLayerNormI6__halfLi2ELi64EEvPT_PKS1_S4_S4_S4_fi.has_dyn_sized_stack, 0
	.set _Z28addBiasResidualPostLayerNormI6__halfLi2ELi64EEvPT_PKS1_S4_S4_S4_fi.has_recursion, 0
	.set _Z28addBiasResidualPostLayerNormI6__halfLi2ELi64EEvPT_PKS1_S4_S4_S4_fi.has_indirect_call, 0
	.section	.AMDGPU.csdata,"",@progbits
; Kernel info:
; codeLenInByte = 1964
; TotalNumSgprs: 17
; NumVgprs: 19
; ScratchSize: 0
; MemoryBound: 0
; FloatMode: 240
; IeeeMode: 1
; LDSByteSize: 72 bytes/workgroup (compile time only)
; SGPRBlocks: 0
; VGPRBlocks: 2
; NumSGPRsForWavesPerEU: 17
; NumVGPRsForWavesPerEU: 19
; Occupancy: 16
; WaveLimiterHint : 0
; COMPUTE_PGM_RSRC2:SCRATCH_EN: 0
; COMPUTE_PGM_RSRC2:USER_SGPR: 2
; COMPUTE_PGM_RSRC2:TRAP_HANDLER: 0
; COMPUTE_PGM_RSRC2:TGID_X_EN: 1
; COMPUTE_PGM_RSRC2:TGID_Y_EN: 0
; COMPUTE_PGM_RSRC2:TGID_Z_EN: 0
; COMPUTE_PGM_RSRC2:TIDIG_COMP_CNT: 0
	.section	.text._Z35generalAddBiasResidualPostLayerNormI6__halfLi64EEvPT_PKS1_S4_S4_S4_fi,"axG",@progbits,_Z35generalAddBiasResidualPostLayerNormI6__halfLi64EEvPT_PKS1_S4_S4_S4_fi,comdat
	.protected	_Z35generalAddBiasResidualPostLayerNormI6__halfLi64EEvPT_PKS1_S4_S4_S4_fi ; -- Begin function _Z35generalAddBiasResidualPostLayerNormI6__halfLi64EEvPT_PKS1_S4_S4_S4_fi
	.globl	_Z35generalAddBiasResidualPostLayerNormI6__halfLi64EEvPT_PKS1_S4_S4_S4_fi
	.p2align	8
	.type	_Z35generalAddBiasResidualPostLayerNormI6__halfLi64EEvPT_PKS1_S4_S4_S4_fi,@function
_Z35generalAddBiasResidualPostLayerNormI6__halfLi64EEvPT_PKS1_S4_S4_S4_fi: ; @_Z35generalAddBiasResidualPostLayerNormI6__halfLi64EEvPT_PKS1_S4_S4_S4_fi
; %bb.0:
	s_clause 0x2
	s_load_b64 s[14:15], s[0:1], 0x28
	s_load_b64 s[12:13], s[0:1], 0x0
	s_load_b128 s[4:7], s[0:1], 0x18
	v_dual_mov_b32 v4, 0 :: v_dual_lshlrev_b32 v3, 2, v0
	s_wait_kmcnt 0x0
	s_lshr_b32 s2, s15, 31
	s_mul_i32 s17, s15, ttmp9
	s_add_co_i32 s2, s15, s2
	s_delay_alu instid0(SALU_CYCLE_1) | instskip(NEXT) | instid1(SALU_CYCLE_1)
	s_ashr_i32 s16, s2, 1
	v_cmp_gt_i32_e64 s2, s16, v0
	s_and_saveexec_b32 s18, s2
	s_cbranch_execz .LBB12_4
; %bb.1:
	s_clause 0x1
	s_load_b128 s[8:11], s[0:1], 0x8
	s_load_b32 s3, s[0:1], 0x3c
	v_dual_mov_b32 v4, 0 :: v_dual_mov_b32 v5, v0
	s_lshr_b32 s19, s17, 1
	s_wait_kmcnt 0x0
	v_add_co_u32 v1, s10, s10, v3
	s_wait_alu 0xf1ff
	v_add_co_ci_u32_e64 v2, null, s11, 0, s10
	s_and_b32 s11, s3, 0xffff
	s_mov_b32 s10, 0
	s_wait_alu 0xfffe
	s_lshl_b32 s20, s11, 2
.LBB12_2:                               ; =>This Inner Loop Header: Depth=1
	v_add_nc_u32_e32 v6, s19, v5
	s_delay_alu instid0(VALU_DEP_1) | instskip(NEXT) | instid1(VALU_DEP_1)
	v_ashrrev_i32_e32 v7, 31, v6
	v_lshlrev_b64_e32 v[6:7], 2, v[6:7]
	s_delay_alu instid0(VALU_DEP_1) | instskip(SKIP_1) | instid1(VALU_DEP_2)
	v_add_co_u32 v8, vcc_lo, s12, v6
	s_wait_alu 0xfffd
	v_add_co_ci_u32_e64 v9, null, s13, v7, vcc_lo
	v_add_co_u32 v6, vcc_lo, s8, v6
	s_wait_alu 0xfffd
	v_add_co_ci_u32_e64 v7, null, s9, v7, vcc_lo
	global_load_b32 v10, v[8:9], off
	global_load_b32 v6, v[6:7], off
	;; [unrolled: 1-line block ×3, first 2 shown]
	v_add_co_u32 v1, vcc_lo, v1, s20
	s_wait_alu 0xfffd
	v_add_co_ci_u32_e64 v2, null, 0, v2, vcc_lo
	s_wait_loadcnt 0x1
	v_pk_add_f16 v6, v10, v6
	s_wait_loadcnt 0x0
	s_delay_alu instid0(VALU_DEP_1) | instskip(NEXT) | instid1(VALU_DEP_1)
	v_pk_add_f16 v6, v6, v7
	v_lshrrev_b32_e32 v7, 16, v6
	v_cvt_f32_f16_e32 v10, v6
	v_add_nc_u32_e32 v5, s11, v5
	global_store_b32 v[8:9], v6, off
	v_cvt_f32_f16_e32 v7, v7
	v_add_f32_e32 v4, v4, v10
	v_cmp_le_i32_e64 s3, s16, v5
	s_delay_alu instid0(VALU_DEP_2)
	v_add_f32_e32 v4, v4, v7
	s_or_b32 s10, s3, s10
	s_wait_alu 0xfffe
	s_and_not1_b32 exec_lo, exec_lo, s10
	s_cbranch_execnz .LBB12_2
; %bb.3:
	s_or_b32 exec_lo, exec_lo, s10
.LBB12_4:
	s_delay_alu instid0(SALU_CYCLE_1) | instskip(SKIP_1) | instid1(VALU_DEP_1)
	s_or_b32 exec_lo, exec_lo, s18
	v_mbcnt_lo_u32_b32 v7, -1, 0
	v_or_b32_e32 v1, 32, v7
	v_xor_b32_e32 v2, 16, v7
	v_xor_b32_e32 v10, 1, v7
	s_delay_alu instid0(VALU_DEP_3)
	v_cmp_gt_i32_e32 vcc_lo, 64, v1
	s_wait_alu 0xfffd
	v_cndmask_b32_e32 v1, v7, v1, vcc_lo
	v_cmp_gt_i32_e32 vcc_lo, 64, v2
	s_wait_alu 0xfffd
	v_cndmask_b32_e32 v2, v7, v2, vcc_lo
	s_delay_alu instid0(VALU_DEP_1)
	v_lshlrev_b32_e32 v2, 2, v2
	v_lshlrev_b32_e32 v1, 2, v1
	ds_bpermute_b32 v5, v1, v4
	s_wait_dscnt 0x0
	v_add_f32_e32 v5, v4, v5
	v_xor_b32_e32 v4, 8, v7
	ds_bpermute_b32 v6, v2, v5
	v_cmp_gt_i32_e32 vcc_lo, 64, v4
	s_wait_alu 0xfffd
	v_cndmask_b32_e32 v4, v7, v4, vcc_lo
	s_wait_dscnt 0x0
	v_add_f32_e32 v6, v5, v6
	v_xor_b32_e32 v5, 4, v7
	s_delay_alu instid0(VALU_DEP_1) | instskip(SKIP_2) | instid1(VALU_DEP_1)
	v_cmp_gt_i32_e32 vcc_lo, 64, v5
	s_wait_alu 0xfffd
	v_dual_cndmask_b32 v5, v7, v5 :: v_dual_lshlrev_b32 v4, 2, v4
	v_lshlrev_b32_e32 v5, 2, v5
	ds_bpermute_b32 v8, v4, v6
	s_wait_dscnt 0x0
	v_add_f32_e32 v8, v6, v8
	v_xor_b32_e32 v6, 2, v7
	s_delay_alu instid0(VALU_DEP_1)
	v_cmp_gt_i32_e32 vcc_lo, 64, v6
	s_wait_alu 0xfffd
	v_cndmask_b32_e32 v6, v7, v6, vcc_lo
	v_cmp_gt_i32_e32 vcc_lo, 64, v10
	s_wait_alu 0xfffd
	v_cndmask_b32_e32 v7, v7, v10, vcc_lo
	ds_bpermute_b32 v9, v5, v8
	v_lshlrev_b32_e32 v7, 2, v7
	v_lshlrev_b32_e32 v6, 2, v6
	s_wait_dscnt 0x0
	v_add_f32_e32 v8, v8, v9
	ds_bpermute_b32 v9, v6, v8
	s_wait_dscnt 0x0
	v_dual_add_f32 v10, v8, v9 :: v_dual_and_b32 v9, 63, v0
	v_lshrrev_b32_e32 v8, 4, v0
	ds_bpermute_b32 v11, v7, v10
	v_cmp_eq_u32_e64 s3, 0, v9
	s_and_saveexec_b32 s8, s3
	s_cbranch_execz .LBB12_6
; %bb.5:
	s_wait_dscnt 0x0
	v_add_f32_e32 v10, v10, v11
	ds_store_b32 v8, v10
.LBB12_6:
	s_wait_alu 0xfffe
	s_or_b32 exec_lo, exec_lo, s8
	s_wait_storecnt_dscnt 0x0
	s_barrier_signal -1
	s_barrier_wait -1
	global_inv scope:SCOPE_SE
	s_load_b32 s8, s[0:1], 0x3c
	v_dual_mov_b32 v10, 0 :: v_dual_lshlrev_b32 v9, 2, v9
	s_wait_kmcnt 0x0
	s_bfe_u32 s0, s8, 0xa0006
	s_delay_alu instid0(SALU_CYCLE_1)
	v_cmp_gt_u32_e64 s0, s0, v0
	s_and_saveexec_b32 s1, s0
; %bb.7:
	ds_load_b32 v10, v9
; %bb.8:
	s_wait_alu 0xfffe
	s_or_b32 exec_lo, exec_lo, s1
	s_wait_dscnt 0x0
	ds_bpermute_b32 v11, v1, v10
	v_cmp_eq_u32_e64 s1, 0, v0
	s_cvt_f32_i32 s9, s15
	s_wait_dscnt 0x0
	v_add_f32_e32 v10, v10, v11
	ds_bpermute_b32 v11, v2, v10
	s_wait_dscnt 0x0
	v_add_f32_e32 v10, v10, v11
	ds_bpermute_b32 v11, v4, v10
	;; [unrolled: 3-line block ×5, first 2 shown]
	s_and_saveexec_b32 s10, s1
	s_cbranch_execz .LBB12_10
; %bb.9:
	s_wait_dscnt 0x0
	v_add_f32_e32 v10, v10, v11
	s_wait_alu 0xfffe
	s_delay_alu instid0(VALU_DEP_1) | instskip(SKIP_1) | instid1(VALU_DEP_2)
	v_div_scale_f32 v11, null, s9, s9, v10
	v_div_scale_f32 v14, vcc_lo, v10, s9, v10
	v_rcp_f32_e32 v12, v11
	s_delay_alu instid0(TRANS32_DEP_1) | instskip(NEXT) | instid1(VALU_DEP_1)
	v_fma_f32 v13, -v11, v12, 1.0
	v_fmac_f32_e32 v12, v13, v12
	s_delay_alu instid0(VALU_DEP_1) | instskip(NEXT) | instid1(VALU_DEP_1)
	v_mul_f32_e32 v13, v14, v12
	v_fma_f32 v15, -v11, v13, v14
	s_delay_alu instid0(VALU_DEP_1) | instskip(NEXT) | instid1(VALU_DEP_1)
	v_fmac_f32_e32 v13, v15, v12
	v_fma_f32 v11, -v11, v13, v14
	s_wait_alu 0xfffd
	s_delay_alu instid0(VALU_DEP_1) | instskip(NEXT) | instid1(VALU_DEP_1)
	v_div_fmas_f32 v11, v11, v12, v13
	v_div_fixup_f32 v10, v11, s9, v10
	v_mov_b32_e32 v11, 0
	ds_store_b32 v11, v10 offset:68
.LBB12_10:
	s_wait_alu 0xfffe
	s_or_b32 exec_lo, exec_lo, s10
	v_mov_b32_e32 v10, 0
	s_and_b32 s8, 0xffff, s8
	s_wait_loadcnt_dscnt 0x0
	s_barrier_signal -1
	s_barrier_wait -1
	global_inv scope:SCOPE_SE
	s_and_saveexec_b32 s10, s2
	s_cbranch_execz .LBB12_14
; %bb.11:
	v_mov_b32_e32 v10, 0
	v_mov_b32_e32 v12, v0
	s_lshr_b32 s15, s17, 1
	s_mov_b32 s11, 0
	ds_load_b32 v11, v10 offset:68
.LBB12_12:                              ; =>This Inner Loop Header: Depth=1
	v_add_nc_u32_e32 v13, s15, v12
	s_delay_alu instid0(VALU_DEP_1) | instskip(NEXT) | instid1(VALU_DEP_1)
	v_ashrrev_i32_e32 v14, 31, v13
	v_lshlrev_b64_e32 v[13:14], 2, v[13:14]
	s_delay_alu instid0(VALU_DEP_1) | instskip(SKIP_1) | instid1(VALU_DEP_2)
	v_add_co_u32 v13, vcc_lo, s12, v13
	s_wait_alu 0xfffd
	v_add_co_ci_u32_e64 v14, null, s13, v14, vcc_lo
	global_load_b32 v13, v[13:14], off
	s_wait_loadcnt 0x0
	v_cvt_f32_f16_e32 v14, v13
	v_lshrrev_b32_e32 v13, 16, v13
	s_wait_dscnt 0x0
	s_delay_alu instid0(VALU_DEP_2) | instskip(NEXT) | instid1(VALU_DEP_2)
	v_sub_f32_e32 v14, v14, v11
	v_cvt_f32_f16_e32 v13, v13
	s_wait_alu 0xfffe
	v_add_nc_u32_e32 v12, s8, v12
	s_delay_alu instid0(VALU_DEP_2) | instskip(NEXT) | instid1(VALU_DEP_2)
	v_dual_fmac_f32 v10, v14, v14 :: v_dual_sub_f32 v13, v13, v11
	v_cmp_le_i32_e32 vcc_lo, s16, v12
	s_delay_alu instid0(VALU_DEP_2)
	v_fmac_f32_e32 v10, v13, v13
	s_or_b32 s11, vcc_lo, s11
	s_wait_alu 0xfffe
	s_and_not1_b32 exec_lo, exec_lo, s11
	s_cbranch_execnz .LBB12_12
; %bb.13:
	s_or_b32 exec_lo, exec_lo, s11
.LBB12_14:
	s_wait_alu 0xfffe
	s_or_b32 exec_lo, exec_lo, s10
	ds_bpermute_b32 v11, v1, v10
	s_wait_dscnt 0x0
	v_add_f32_e32 v10, v10, v11
	ds_bpermute_b32 v11, v2, v10
	s_wait_dscnt 0x0
	v_add_f32_e32 v10, v10, v11
	ds_bpermute_b32 v11, v4, v10
	s_wait_dscnt 0x0
	v_add_f32_e32 v10, v10, v11
	ds_bpermute_b32 v11, v5, v10
	s_wait_dscnt 0x0
	v_add_f32_e32 v10, v10, v11
	ds_bpermute_b32 v11, v6, v10
	s_wait_dscnt 0x0
	v_add_f32_e32 v10, v10, v11
	ds_bpermute_b32 v11, v7, v10
	s_and_saveexec_b32 s10, s3
	s_cbranch_execz .LBB12_16
; %bb.15:
	s_wait_dscnt 0x0
	v_add_f32_e32 v10, v10, v11
	ds_store_b32 v8, v10
.LBB12_16:
	s_wait_alu 0xfffe
	s_or_b32 exec_lo, exec_lo, s10
	v_mov_b32_e32 v8, 0
	s_wait_loadcnt_dscnt 0x0
	s_barrier_signal -1
	s_barrier_wait -1
	global_inv scope:SCOPE_SE
	s_and_saveexec_b32 s3, s0
; %bb.17:
	ds_load_b32 v8, v9
; %bb.18:
	s_or_b32 exec_lo, exec_lo, s3
	s_wait_dscnt 0x0
	ds_bpermute_b32 v1, v1, v8
	s_wait_dscnt 0x0
	v_add_f32_e32 v1, v8, v1
	ds_bpermute_b32 v2, v2, v1
	s_wait_dscnt 0x0
	v_add_f32_e32 v1, v1, v2
	;; [unrolled: 3-line block ×5, first 2 shown]
	ds_bpermute_b32 v2, v7, v1
	s_and_saveexec_b32 s0, s1
	s_cbranch_execz .LBB12_20
; %bb.19:
	s_wait_dscnt 0x0
	v_add_f32_e32 v1, v1, v2
	s_delay_alu instid0(VALU_DEP_1) | instskip(SKIP_1) | instid1(VALU_DEP_2)
	v_div_scale_f32 v2, null, s9, s9, v1
	v_div_scale_f32 v6, vcc_lo, v1, s9, v1
	v_rcp_f32_e32 v4, v2
	s_delay_alu instid0(TRANS32_DEP_1) | instskip(NEXT) | instid1(VALU_DEP_1)
	v_fma_f32 v5, -v2, v4, 1.0
	v_fmac_f32_e32 v4, v5, v4
	s_delay_alu instid0(VALU_DEP_1) | instskip(NEXT) | instid1(VALU_DEP_1)
	v_mul_f32_e32 v5, v6, v4
	v_fma_f32 v7, -v2, v5, v6
	s_delay_alu instid0(VALU_DEP_1) | instskip(NEXT) | instid1(VALU_DEP_1)
	v_fmac_f32_e32 v5, v7, v4
	v_fma_f32 v2, -v2, v5, v6
	s_wait_alu 0xfffd
	s_delay_alu instid0(VALU_DEP_1) | instskip(NEXT) | instid1(VALU_DEP_1)
	v_div_fmas_f32 v2, v2, v4, v5
	v_div_fixup_f32 v1, v2, s9, v1
	s_delay_alu instid0(VALU_DEP_1) | instskip(NEXT) | instid1(VALU_DEP_1)
	v_add_f32_e32 v1, s14, v1
	v_mul_f32_e32 v2, 0x4b800000, v1
	v_cmp_gt_f32_e32 vcc_lo, 0x800000, v1
	s_wait_alu 0xfffd
	s_delay_alu instid0(VALU_DEP_2) | instskip(NEXT) | instid1(VALU_DEP_1)
	v_cndmask_b32_e32 v1, v1, v2, vcc_lo
	v_rsq_f32_e32 v1, v1
	s_delay_alu instid0(TRANS32_DEP_1) | instskip(NEXT) | instid1(VALU_DEP_1)
	v_mul_f32_e32 v2, 0x45800000, v1
	v_dual_cndmask_b32 v1, v1, v2 :: v_dual_mov_b32 v2, 0
	ds_store_b32 v2, v1 offset:64
.LBB12_20:
	s_wait_alu 0xfffe
	s_or_b32 exec_lo, exec_lo, s0
	s_wait_loadcnt_dscnt 0x0
	s_barrier_signal -1
	s_barrier_wait -1
	global_inv scope:SCOPE_SE
	s_and_saveexec_b32 s0, s2
	s_cbranch_execz .LBB12_23
; %bb.21:
	v_mov_b32_e32 v4, 0
	s_lshr_b32 s1, s17, 1
	s_mov_b32 s2, 0
	s_lshl_b32 s3, s8, 2
	ds_load_b64 v[1:2], v4 offset:64
.LBB12_22:                              ; =>This Inner Loop Header: Depth=1
	s_wait_alu 0xfffe
	v_add_nc_u32_e32 v5, s1, v0
	s_delay_alu instid0(VALU_DEP_1) | instskip(NEXT) | instid1(VALU_DEP_1)
	v_ashrrev_i32_e32 v6, 31, v5
	v_lshlrev_b64_e32 v[5:6], 2, v[5:6]
	s_delay_alu instid0(VALU_DEP_1) | instskip(SKIP_1) | instid1(VALU_DEP_2)
	v_add_co_u32 v5, vcc_lo, s12, v5
	s_wait_alu 0xfffd
	v_add_co_ci_u32_e64 v6, null, s13, v6, vcc_lo
	v_add_co_u32 v7, vcc_lo, s4, v3
	s_wait_alu 0xfffd
	v_add_co_ci_u32_e64 v8, null, s5, v4, vcc_lo
	global_load_b32 v11, v[5:6], off
	v_add_co_u32 v9, vcc_lo, s6, v3
	s_wait_alu 0xfffd
	v_add_co_ci_u32_e64 v10, null, s7, v4, vcc_lo
	global_load_b32 v7, v[7:8], off
	global_load_b32 v8, v[9:10], off
	v_add_co_u32 v3, vcc_lo, v3, s3
	s_wait_alu 0xfffd
	v_add_co_ci_u32_e64 v4, null, 0, v4, vcc_lo
	s_wait_loadcnt 0x2
	v_lshrrev_b32_e32 v9, 16, v11
	v_cvt_f32_f16_e32 v10, v11
	s_delay_alu instid0(VALU_DEP_2) | instskip(SKIP_1) | instid1(VALU_DEP_2)
	v_cvt_f32_f16_e32 v9, v9
	s_wait_dscnt 0x0
	v_sub_f32_e32 v10, v10, v2
	s_delay_alu instid0(VALU_DEP_1) | instskip(NEXT) | instid1(VALU_DEP_1)
	v_dual_sub_f32 v9, v9, v2 :: v_dual_mul_f32 v10, v10, v1
	v_dual_mul_f32 v9, v1, v9 :: v_dual_add_nc_u32 v0, s8, v0
	s_wait_loadcnt 0x0
	s_delay_alu instid0(VALU_DEP_2) | instskip(NEXT) | instid1(VALU_DEP_2)
	v_fma_mixlo_f16 v10, v10, v7, v8 op_sel_hi:[0,1,1]
	v_cmp_le_i32_e64 s0, s16, v0
	s_delay_alu instid0(VALU_DEP_2)
	v_fma_mixhi_f16 v10, v9, v7, v8 op_sel:[0,1,1] op_sel_hi:[0,1,1]
	s_or_b32 s2, s0, s2
	global_store_b32 v[5:6], v10, off
	s_wait_alu 0xfffe
	s_and_not1_b32 exec_lo, exec_lo, s2
	s_cbranch_execnz .LBB12_22
.LBB12_23:
	s_endpgm
	.section	.rodata,"a",@progbits
	.p2align	6, 0x0
	.amdhsa_kernel _Z35generalAddBiasResidualPostLayerNormI6__halfLi64EEvPT_PKS1_S4_S4_S4_fi
		.amdhsa_group_segment_fixed_size 72
		.amdhsa_private_segment_fixed_size 0
		.amdhsa_kernarg_size 304
		.amdhsa_user_sgpr_count 2
		.amdhsa_user_sgpr_dispatch_ptr 0
		.amdhsa_user_sgpr_queue_ptr 0
		.amdhsa_user_sgpr_kernarg_segment_ptr 1
		.amdhsa_user_sgpr_dispatch_id 0
		.amdhsa_user_sgpr_private_segment_size 0
		.amdhsa_wavefront_size32 1
		.amdhsa_uses_dynamic_stack 0
		.amdhsa_enable_private_segment 0
		.amdhsa_system_sgpr_workgroup_id_x 1
		.amdhsa_system_sgpr_workgroup_id_y 0
		.amdhsa_system_sgpr_workgroup_id_z 0
		.amdhsa_system_sgpr_workgroup_info 0
		.amdhsa_system_vgpr_workitem_id 0
		.amdhsa_next_free_vgpr 16
		.amdhsa_next_free_sgpr 21
		.amdhsa_reserve_vcc 1
		.amdhsa_float_round_mode_32 0
		.amdhsa_float_round_mode_16_64 0
		.amdhsa_float_denorm_mode_32 3
		.amdhsa_float_denorm_mode_16_64 3
		.amdhsa_fp16_overflow 0
		.amdhsa_workgroup_processor_mode 1
		.amdhsa_memory_ordered 1
		.amdhsa_forward_progress 1
		.amdhsa_inst_pref_size 16
		.amdhsa_round_robin_scheduling 0
		.amdhsa_exception_fp_ieee_invalid_op 0
		.amdhsa_exception_fp_denorm_src 0
		.amdhsa_exception_fp_ieee_div_zero 0
		.amdhsa_exception_fp_ieee_overflow 0
		.amdhsa_exception_fp_ieee_underflow 0
		.amdhsa_exception_fp_ieee_inexact 0
		.amdhsa_exception_int_div_zero 0
	.end_amdhsa_kernel
	.section	.text._Z35generalAddBiasResidualPostLayerNormI6__halfLi64EEvPT_PKS1_S4_S4_S4_fi,"axG",@progbits,_Z35generalAddBiasResidualPostLayerNormI6__halfLi64EEvPT_PKS1_S4_S4_S4_fi,comdat
.Lfunc_end12:
	.size	_Z35generalAddBiasResidualPostLayerNormI6__halfLi64EEvPT_PKS1_S4_S4_S4_fi, .Lfunc_end12-_Z35generalAddBiasResidualPostLayerNormI6__halfLi64EEvPT_PKS1_S4_S4_S4_fi
                                        ; -- End function
	.set _Z35generalAddBiasResidualPostLayerNormI6__halfLi64EEvPT_PKS1_S4_S4_S4_fi.num_vgpr, 16
	.set _Z35generalAddBiasResidualPostLayerNormI6__halfLi64EEvPT_PKS1_S4_S4_S4_fi.num_agpr, 0
	.set _Z35generalAddBiasResidualPostLayerNormI6__halfLi64EEvPT_PKS1_S4_S4_S4_fi.numbered_sgpr, 21
	.set _Z35generalAddBiasResidualPostLayerNormI6__halfLi64EEvPT_PKS1_S4_S4_S4_fi.num_named_barrier, 0
	.set _Z35generalAddBiasResidualPostLayerNormI6__halfLi64EEvPT_PKS1_S4_S4_S4_fi.private_seg_size, 0
	.set _Z35generalAddBiasResidualPostLayerNormI6__halfLi64EEvPT_PKS1_S4_S4_S4_fi.uses_vcc, 1
	.set _Z35generalAddBiasResidualPostLayerNormI6__halfLi64EEvPT_PKS1_S4_S4_S4_fi.uses_flat_scratch, 0
	.set _Z35generalAddBiasResidualPostLayerNormI6__halfLi64EEvPT_PKS1_S4_S4_S4_fi.has_dyn_sized_stack, 0
	.set _Z35generalAddBiasResidualPostLayerNormI6__halfLi64EEvPT_PKS1_S4_S4_S4_fi.has_recursion, 0
	.set _Z35generalAddBiasResidualPostLayerNormI6__halfLi64EEvPT_PKS1_S4_S4_S4_fi.has_indirect_call, 0
	.section	.AMDGPU.csdata,"",@progbits
; Kernel info:
; codeLenInByte = 1940
; TotalNumSgprs: 23
; NumVgprs: 16
; ScratchSize: 0
; MemoryBound: 0
; FloatMode: 240
; IeeeMode: 1
; LDSByteSize: 72 bytes/workgroup (compile time only)
; SGPRBlocks: 0
; VGPRBlocks: 1
; NumSGPRsForWavesPerEU: 23
; NumVGPRsForWavesPerEU: 16
; Occupancy: 16
; WaveLimiterHint : 0
; COMPUTE_PGM_RSRC2:SCRATCH_EN: 0
; COMPUTE_PGM_RSRC2:USER_SGPR: 2
; COMPUTE_PGM_RSRC2:TRAP_HANDLER: 0
; COMPUTE_PGM_RSRC2:TGID_X_EN: 1
; COMPUTE_PGM_RSRC2:TGID_Y_EN: 0
; COMPUTE_PGM_RSRC2:TGID_Z_EN: 0
; COMPUTE_PGM_RSRC2:TIDIG_COMP_CNT: 0
	.section	.text._Z28addBiasResidualPostLayerNormI6__halfLi1ELi32EEvPT_PKS1_S4_S4_S4_fi,"axG",@progbits,_Z28addBiasResidualPostLayerNormI6__halfLi1ELi32EEvPT_PKS1_S4_S4_S4_fi,comdat
	.protected	_Z28addBiasResidualPostLayerNormI6__halfLi1ELi32EEvPT_PKS1_S4_S4_S4_fi ; -- Begin function _Z28addBiasResidualPostLayerNormI6__halfLi1ELi32EEvPT_PKS1_S4_S4_S4_fi
	.globl	_Z28addBiasResidualPostLayerNormI6__halfLi1ELi32EEvPT_PKS1_S4_S4_S4_fi
	.p2align	8
	.type	_Z28addBiasResidualPostLayerNormI6__halfLi1ELi32EEvPT_PKS1_S4_S4_S4_fi,@function
_Z28addBiasResidualPostLayerNormI6__halfLi1ELi32EEvPT_PKS1_S4_S4_S4_fi: ; @_Z28addBiasResidualPostLayerNormI6__halfLi1ELi32EEvPT_PKS1_S4_S4_S4_fi
; %bb.0:
	s_clause 0x1
	s_load_b64 s[8:9], s[0:1], 0x28
	s_load_b64 s[6:7], s[0:1], 0x0
	v_mov_b32_e32 v5, 0
	v_lshlrev_b32_e32 v1, 1, v0
                                        ; implicit-def: $vgpr2
	s_wait_kmcnt 0x0
	v_cmp_gt_i32_e64 s2, s9, v0
	s_and_saveexec_b32 s3, s2
	s_cbranch_execz .LBB13_2
; %bb.1:
	s_load_b128 s[12:15], s[0:1], 0x8
	v_mad_co_u64_u32 v[2:3], null, s9, ttmp9, v[0:1]
	v_mov_b32_e32 v3, 0
	s_delay_alu instid0(VALU_DEP_1) | instskip(NEXT) | instid1(VALU_DEP_1)
	v_lshlrev_b64_e32 v[2:3], 1, v[2:3]
	v_add_co_u32 v4, vcc_lo, s6, v2
	s_delay_alu instid0(VALU_DEP_1)
	v_add_co_ci_u32_e64 v5, null, s7, v3, vcc_lo
	s_wait_kmcnt 0x0
	v_add_co_u32 v2, vcc_lo, s12, v2
	s_wait_alu 0xfffd
	v_add_co_ci_u32_e64 v3, null, s13, v3, vcc_lo
	global_load_u16 v4, v[4:5], off
	global_load_u16 v2, v[2:3], off
	global_load_u16 v3, v1, s[14:15]
	s_wait_loadcnt 0x1
	v_add_f16_e32 v2, v4, v2
	s_wait_loadcnt 0x0
	s_delay_alu instid0(VALU_DEP_1) | instskip(NEXT) | instid1(VALU_DEP_1)
	v_add_f16_e32 v2, v2, v3
	v_cvt_f32_f16_e32 v2, v2
	s_delay_alu instid0(VALU_DEP_1)
	v_add_f32_e32 v5, 0, v2
.LBB13_2:
	s_or_b32 exec_lo, exec_lo, s3
	v_mbcnt_lo_u32_b32 v7, -1, 0
	s_delay_alu instid0(VALU_DEP_1) | instskip(SKIP_2) | instid1(VALU_DEP_3)
	v_xor_b32_e32 v3, 16, v7
	v_xor_b32_e32 v4, 8, v7
	;; [unrolled: 1-line block ×3, first 2 shown]
	v_cmp_gt_i32_e32 vcc_lo, 32, v3
	s_wait_alu 0xfffd
	v_cndmask_b32_e32 v3, v7, v3, vcc_lo
	v_cmp_gt_i32_e32 vcc_lo, 32, v4
	s_wait_alu 0xfffd
	v_cndmask_b32_e32 v4, v7, v4, vcc_lo
	s_delay_alu instid0(VALU_DEP_1)
	v_lshlrev_b32_e32 v4, 2, v4
	v_lshlrev_b32_e32 v3, 2, v3
	ds_bpermute_b32 v6, v3, v5
	s_wait_dscnt 0x0
	v_add_f32_e32 v6, v5, v6
	v_xor_b32_e32 v5, 4, v7
	ds_bpermute_b32 v8, v4, v6
	v_cmp_gt_i32_e32 vcc_lo, 32, v5
	s_wait_dscnt 0x0
	s_wait_alu 0xfffd
	v_dual_cndmask_b32 v5, v7, v5 :: v_dual_add_f32 v8, v6, v8
	s_delay_alu instid0(VALU_DEP_1)
	v_lshlrev_b32_e32 v5, 2, v5
	v_xor_b32_e32 v6, 2, v7
	ds_bpermute_b32 v9, v5, v8
	v_cmp_gt_i32_e32 vcc_lo, 32, v6
	s_wait_alu 0xfffd
	v_cndmask_b32_e32 v6, v7, v6, vcc_lo
	v_cmp_gt_i32_e32 vcc_lo, 32, v10
	s_wait_alu 0xfffd
	v_cndmask_b32_e32 v7, v7, v10, vcc_lo
	s_delay_alu instid0(VALU_DEP_1)
	v_lshlrev_b32_e32 v7, 2, v7
	v_lshlrev_b32_e32 v6, 2, v6
	s_wait_dscnt 0x0
	v_add_f32_e32 v8, v8, v9
	ds_bpermute_b32 v9, v6, v8
	s_wait_dscnt 0x0
	v_dual_add_f32 v10, v8, v9 :: v_dual_and_b32 v9, 31, v0
	v_lshrrev_b32_e32 v8, 3, v0
	ds_bpermute_b32 v11, v7, v10
	v_cmp_eq_u32_e64 s3, 0, v9
	s_and_saveexec_b32 s4, s3
	s_cbranch_execz .LBB13_4
; %bb.3:
	s_wait_dscnt 0x0
	v_add_f32_e32 v10, v10, v11
	ds_store_b32 v8, v10
.LBB13_4:
	s_or_b32 exec_lo, exec_lo, s4
	s_wait_dscnt 0x0
	s_barrier_signal -1
	s_barrier_wait -1
	global_inv scope:SCOPE_SE
	s_load_b32 s4, s[0:1], 0x3c
	v_dual_mov_b32 v10, 0 :: v_dual_lshlrev_b32 v9, 2, v9
	s_wait_kmcnt 0x0
	s_bfe_u32 s4, s4, 0xb0005
	s_delay_alu instid0(SALU_CYCLE_1)
	v_cmp_gt_u32_e64 s4, s4, v0
	s_and_saveexec_b32 s5, s4
; %bb.5:
	ds_load_b32 v10, v9
; %bb.6:
	s_wait_alu 0xfffe
	s_or_b32 exec_lo, exec_lo, s5
	s_wait_dscnt 0x0
	ds_bpermute_b32 v11, v3, v10
	v_cmp_eq_u32_e64 s5, 0, v0
	s_cvt_f32_i32 s10, s9
	s_wait_dscnt 0x0
	v_add_f32_e32 v10, v10, v11
	ds_bpermute_b32 v11, v4, v10
	s_wait_dscnt 0x0
	v_add_f32_e32 v10, v10, v11
	ds_bpermute_b32 v11, v5, v10
	;; [unrolled: 3-line block ×4, first 2 shown]
	s_and_saveexec_b32 s11, s5
	s_cbranch_execz .LBB13_8
; %bb.7:
	s_wait_dscnt 0x0
	v_add_f32_e32 v10, v10, v11
	s_delay_alu instid0(VALU_DEP_1) | instskip(SKIP_1) | instid1(VALU_DEP_2)
	v_div_scale_f32 v11, null, s10, s10, v10
	v_div_scale_f32 v14, vcc_lo, v10, s10, v10
	v_rcp_f32_e32 v12, v11
	s_delay_alu instid0(TRANS32_DEP_1) | instskip(NEXT) | instid1(VALU_DEP_1)
	v_fma_f32 v13, -v11, v12, 1.0
	v_fmac_f32_e32 v12, v13, v12
	s_delay_alu instid0(VALU_DEP_1) | instskip(NEXT) | instid1(VALU_DEP_1)
	v_mul_f32_e32 v13, v14, v12
	v_fma_f32 v15, -v11, v13, v14
	s_delay_alu instid0(VALU_DEP_1) | instskip(NEXT) | instid1(VALU_DEP_1)
	v_fmac_f32_e32 v13, v15, v12
	v_fma_f32 v11, -v11, v13, v14
	s_wait_alu 0xfffd
	s_delay_alu instid0(VALU_DEP_1) | instskip(NEXT) | instid1(VALU_DEP_1)
	v_div_fmas_f32 v11, v11, v12, v13
	v_div_fixup_f32 v10, v11, s10, v10
	v_mov_b32_e32 v11, 0
	ds_store_b32 v11, v10 offset:132
.LBB13_8:
	s_or_b32 exec_lo, exec_lo, s11
	v_mov_b32_e32 v10, 0
	s_wait_loadcnt_dscnt 0x0
	s_barrier_signal -1
	s_barrier_wait -1
	global_inv scope:SCOPE_SE
	ds_load_b32 v11, v10 offset:132
	s_wait_dscnt 0x0
	v_sub_f32_e32 v11, v2, v11
	s_delay_alu instid0(VALU_DEP_1) | instskip(NEXT) | instid1(VALU_DEP_1)
	v_mul_f32_e32 v11, v11, v11
	v_cndmask_b32_e64 v11, 0, v11, s2
	ds_bpermute_b32 v12, v3, v11
	s_wait_dscnt 0x0
	v_add_f32_e32 v11, v11, v12
	ds_bpermute_b32 v12, v4, v11
	s_wait_dscnt 0x0
	v_add_f32_e32 v11, v11, v12
	ds_bpermute_b32 v12, v5, v11
	s_wait_dscnt 0x0
	v_add_f32_e32 v11, v11, v12
	ds_bpermute_b32 v12, v6, v11
	s_wait_dscnt 0x0
	v_add_f32_e32 v11, v11, v12
	ds_bpermute_b32 v12, v7, v11
	s_and_saveexec_b32 s11, s3
	s_cbranch_execz .LBB13_10
; %bb.9:
	s_wait_dscnt 0x0
	v_add_f32_e32 v11, v11, v12
	ds_store_b32 v8, v11
.LBB13_10:
	s_wait_alu 0xfffe
	s_or_b32 exec_lo, exec_lo, s11
	s_wait_loadcnt_dscnt 0x0
	s_barrier_signal -1
	s_barrier_wait -1
	global_inv scope:SCOPE_SE
	s_and_saveexec_b32 s3, s4
; %bb.11:
	ds_load_b32 v10, v9
; %bb.12:
	s_wait_alu 0xfffe
	s_or_b32 exec_lo, exec_lo, s3
	s_wait_dscnt 0x0
	ds_bpermute_b32 v3, v3, v10
	s_wait_dscnt 0x0
	v_add_f32_e32 v3, v10, v3
	ds_bpermute_b32 v4, v4, v3
	s_wait_dscnt 0x0
	v_add_f32_e32 v3, v3, v4
	;; [unrolled: 3-line block ×4, first 2 shown]
	ds_bpermute_b32 v4, v7, v3
	s_and_saveexec_b32 s3, s5
	s_cbranch_execz .LBB13_14
; %bb.13:
	s_wait_dscnt 0x0
	v_add_f32_e32 v3, v3, v4
	s_delay_alu instid0(VALU_DEP_1) | instskip(SKIP_1) | instid1(VALU_DEP_2)
	v_div_scale_f32 v4, null, s10, s10, v3
	v_div_scale_f32 v7, vcc_lo, v3, s10, v3
	v_rcp_f32_e32 v5, v4
	s_delay_alu instid0(TRANS32_DEP_1) | instskip(NEXT) | instid1(VALU_DEP_1)
	v_fma_f32 v6, -v4, v5, 1.0
	v_fmac_f32_e32 v5, v6, v5
	s_delay_alu instid0(VALU_DEP_1) | instskip(NEXT) | instid1(VALU_DEP_1)
	v_mul_f32_e32 v6, v7, v5
	v_fma_f32 v8, -v4, v6, v7
	s_delay_alu instid0(VALU_DEP_1) | instskip(NEXT) | instid1(VALU_DEP_1)
	v_fmac_f32_e32 v6, v8, v5
	v_fma_f32 v4, -v4, v6, v7
	s_wait_alu 0xfffd
	s_delay_alu instid0(VALU_DEP_1) | instskip(NEXT) | instid1(VALU_DEP_1)
	v_div_fmas_f32 v4, v4, v5, v6
	v_div_fixup_f32 v3, v4, s10, v3
	s_delay_alu instid0(VALU_DEP_1)
	v_dual_mov_b32 v4, 0 :: v_dual_add_f32 v3, s8, v3
	ds_store_b32 v4, v3 offset:128
.LBB13_14:
	s_wait_alu 0xfffe
	s_or_b32 exec_lo, exec_lo, s3
	s_wait_loadcnt_dscnt 0x0
	s_barrier_signal -1
	s_barrier_wait -1
	global_inv scope:SCOPE_SE
	s_and_saveexec_b32 s3, s2
	s_cbranch_execz .LBB13_16
; %bb.15:
	s_load_b128 s[0:3], s[0:1], 0x18
	v_mov_b32_e32 v7, 0
	s_wait_kmcnt 0x0
	s_clause 0x1
	global_load_u16 v5, v1, s[0:1]
	global_load_u16 v6, v1, s[2:3]
	ds_load_b64 v[3:4], v7 offset:128
	v_mad_co_u64_u32 v[0:1], null, s9, ttmp9, v[0:1]
	s_wait_dscnt 0x0
	v_readfirstlane_b32 s0, v3
	v_sub_f32_e32 v2, v2, v4
	s_cmp_lt_f32 s0, 0x800000
	s_mul_f32 s1, s0, 0x4b800000
	s_wait_alu 0xfffe
	s_delay_alu instid0(SALU_CYCLE_2) | instskip(SKIP_2) | instid1(TRANS32_DEP_1)
	s_cselect_b32 s0, s1, s0
	s_wait_alu 0xfffe
	v_s_rsq_f32 s0, s0
	s_mul_f32 s1, s0, 0x45800000
	s_wait_alu 0xfffe
	s_delay_alu instid0(SALU_CYCLE_2) | instskip(SKIP_2) | instid1(VALU_DEP_1)
	s_cselect_b32 s0, s1, s0
	s_wait_alu 0xfffe
	v_dual_mov_b32 v1, v7 :: v_dual_mul_f32 v2, s0, v2
	v_lshlrev_b64_e32 v[0:1], 1, v[0:1]
	s_delay_alu instid0(VALU_DEP_1) | instskip(SKIP_1) | instid1(VALU_DEP_2)
	v_add_co_u32 v0, vcc_lo, s6, v0
	s_wait_alu 0xfffd
	v_add_co_ci_u32_e64 v1, null, s7, v1, vcc_lo
	s_wait_loadcnt 0x0
	v_fma_mixlo_f16 v2, v2, v5, v6 op_sel_hi:[0,1,1]
	global_store_b16 v[0:1], v2, off
.LBB13_16:
	s_endpgm
	.section	.rodata,"a",@progbits
	.p2align	6, 0x0
	.amdhsa_kernel _Z28addBiasResidualPostLayerNormI6__halfLi1ELi32EEvPT_PKS1_S4_S4_S4_fi
		.amdhsa_group_segment_fixed_size 136
		.amdhsa_private_segment_fixed_size 0
		.amdhsa_kernarg_size 304
		.amdhsa_user_sgpr_count 2
		.amdhsa_user_sgpr_dispatch_ptr 0
		.amdhsa_user_sgpr_queue_ptr 0
		.amdhsa_user_sgpr_kernarg_segment_ptr 1
		.amdhsa_user_sgpr_dispatch_id 0
		.amdhsa_user_sgpr_private_segment_size 0
		.amdhsa_wavefront_size32 1
		.amdhsa_uses_dynamic_stack 0
		.amdhsa_enable_private_segment 0
		.amdhsa_system_sgpr_workgroup_id_x 1
		.amdhsa_system_sgpr_workgroup_id_y 0
		.amdhsa_system_sgpr_workgroup_id_z 0
		.amdhsa_system_sgpr_workgroup_info 0
		.amdhsa_system_vgpr_workitem_id 0
		.amdhsa_next_free_vgpr 16
		.amdhsa_next_free_sgpr 16
		.amdhsa_reserve_vcc 1
		.amdhsa_float_round_mode_32 0
		.amdhsa_float_round_mode_16_64 0
		.amdhsa_float_denorm_mode_32 3
		.amdhsa_float_denorm_mode_16_64 3
		.amdhsa_fp16_overflow 0
		.amdhsa_workgroup_processor_mode 1
		.amdhsa_memory_ordered 1
		.amdhsa_forward_progress 1
		.amdhsa_inst_pref_size 11
		.amdhsa_round_robin_scheduling 0
		.amdhsa_exception_fp_ieee_invalid_op 0
		.amdhsa_exception_fp_denorm_src 0
		.amdhsa_exception_fp_ieee_div_zero 0
		.amdhsa_exception_fp_ieee_overflow 0
		.amdhsa_exception_fp_ieee_underflow 0
		.amdhsa_exception_fp_ieee_inexact 0
		.amdhsa_exception_int_div_zero 0
	.end_amdhsa_kernel
	.section	.text._Z28addBiasResidualPostLayerNormI6__halfLi1ELi32EEvPT_PKS1_S4_S4_S4_fi,"axG",@progbits,_Z28addBiasResidualPostLayerNormI6__halfLi1ELi32EEvPT_PKS1_S4_S4_S4_fi,comdat
.Lfunc_end13:
	.size	_Z28addBiasResidualPostLayerNormI6__halfLi1ELi32EEvPT_PKS1_S4_S4_S4_fi, .Lfunc_end13-_Z28addBiasResidualPostLayerNormI6__halfLi1ELi32EEvPT_PKS1_S4_S4_S4_fi
                                        ; -- End function
	.set _Z28addBiasResidualPostLayerNormI6__halfLi1ELi32EEvPT_PKS1_S4_S4_S4_fi.num_vgpr, 16
	.set _Z28addBiasResidualPostLayerNormI6__halfLi1ELi32EEvPT_PKS1_S4_S4_S4_fi.num_agpr, 0
	.set _Z28addBiasResidualPostLayerNormI6__halfLi1ELi32EEvPT_PKS1_S4_S4_S4_fi.numbered_sgpr, 16
	.set _Z28addBiasResidualPostLayerNormI6__halfLi1ELi32EEvPT_PKS1_S4_S4_S4_fi.num_named_barrier, 0
	.set _Z28addBiasResidualPostLayerNormI6__halfLi1ELi32EEvPT_PKS1_S4_S4_S4_fi.private_seg_size, 0
	.set _Z28addBiasResidualPostLayerNormI6__halfLi1ELi32EEvPT_PKS1_S4_S4_S4_fi.uses_vcc, 1
	.set _Z28addBiasResidualPostLayerNormI6__halfLi1ELi32EEvPT_PKS1_S4_S4_S4_fi.uses_flat_scratch, 0
	.set _Z28addBiasResidualPostLayerNormI6__halfLi1ELi32EEvPT_PKS1_S4_S4_S4_fi.has_dyn_sized_stack, 0
	.set _Z28addBiasResidualPostLayerNormI6__halfLi1ELi32EEvPT_PKS1_S4_S4_S4_fi.has_recursion, 0
	.set _Z28addBiasResidualPostLayerNormI6__halfLi1ELi32EEvPT_PKS1_S4_S4_S4_fi.has_indirect_call, 0
	.section	.AMDGPU.csdata,"",@progbits
; Kernel info:
; codeLenInByte = 1388
; TotalNumSgprs: 18
; NumVgprs: 16
; ScratchSize: 0
; MemoryBound: 0
; FloatMode: 240
; IeeeMode: 1
; LDSByteSize: 136 bytes/workgroup (compile time only)
; SGPRBlocks: 0
; VGPRBlocks: 1
; NumSGPRsForWavesPerEU: 18
; NumVGPRsForWavesPerEU: 16
; Occupancy: 16
; WaveLimiterHint : 0
; COMPUTE_PGM_RSRC2:SCRATCH_EN: 0
; COMPUTE_PGM_RSRC2:USER_SGPR: 2
; COMPUTE_PGM_RSRC2:TRAP_HANDLER: 0
; COMPUTE_PGM_RSRC2:TGID_X_EN: 1
; COMPUTE_PGM_RSRC2:TGID_Y_EN: 0
; COMPUTE_PGM_RSRC2:TGID_Z_EN: 0
; COMPUTE_PGM_RSRC2:TIDIG_COMP_CNT: 0
	.section	.text._Z28addBiasResidualPostLayerNormI6__halfLi2ELi32EEvPT_PKS1_S4_S4_S4_fi,"axG",@progbits,_Z28addBiasResidualPostLayerNormI6__halfLi2ELi32EEvPT_PKS1_S4_S4_S4_fi,comdat
	.protected	_Z28addBiasResidualPostLayerNormI6__halfLi2ELi32EEvPT_PKS1_S4_S4_S4_fi ; -- Begin function _Z28addBiasResidualPostLayerNormI6__halfLi2ELi32EEvPT_PKS1_S4_S4_S4_fi
	.globl	_Z28addBiasResidualPostLayerNormI6__halfLi2ELi32EEvPT_PKS1_S4_S4_S4_fi
	.p2align	8
	.type	_Z28addBiasResidualPostLayerNormI6__halfLi2ELi32EEvPT_PKS1_S4_S4_S4_fi,@function
_Z28addBiasResidualPostLayerNormI6__halfLi2ELi32EEvPT_PKS1_S4_S4_S4_fi: ; @_Z28addBiasResidualPostLayerNormI6__halfLi2ELi32EEvPT_PKS1_S4_S4_S4_fi
; %bb.0:
	s_clause 0x1
	s_load_b64 s[10:11], s[0:1], 0x28
	s_load_b64 s[8:9], s[0:1], 0x0
	v_dual_mov_b32 v6, 0 :: v_dual_mov_b32 v3, 0
	s_delay_alu instid0(VALU_DEP_1)
	v_dual_mov_b32 v2, v6 :: v_dual_lshlrev_b32 v7, 1, v0
	s_wait_kmcnt 0x0
	s_mul_i32 s12, s11, ttmp9
	v_cmp_gt_i32_e64 s2, s11, v0
	v_add_nc_u32_e32 v1, s12, v0
	s_and_saveexec_b32 s3, s2
	s_cbranch_execz .LBB14_4
; %bb.1:
	s_clause 0x1
	s_load_b128 s[4:7], s[0:1], 0x8
	s_load_b32 s13, s[0:1], 0x3c
	v_mov_b32_e32 v2, 0
	s_delay_alu instid0(VALU_DEP_1) | instskip(NEXT) | instid1(VALU_DEP_1)
	v_lshlrev_b64_e32 v[3:4], 1, v[1:2]
	v_add_co_u32 v5, vcc_lo, s8, v3
	s_delay_alu instid0(VALU_DEP_1)
	v_add_co_ci_u32_e64 v6, null, s9, v4, vcc_lo
	s_wait_kmcnt 0x0
	v_add_co_u32 v3, vcc_lo, s4, v3
	s_wait_alu 0xfffd
	v_add_co_ci_u32_e64 v4, null, s5, v4, vcc_lo
	s_and_b32 s14, s13, 0xffff
	s_mov_b32 s13, exec_lo
	global_load_u16 v5, v[5:6], off
	global_load_u16 v3, v[3:4], off
	global_load_u16 v4, v7, s[6:7]
	s_wait_loadcnt 0x1
	v_add_f16_e32 v3, v5, v3
	s_wait_loadcnt 0x0
	s_delay_alu instid0(VALU_DEP_1) | instskip(SKIP_1) | instid1(VALU_DEP_2)
	v_add_f16_e32 v3, v3, v4
	v_add_nc_u32_e32 v4, s14, v0
	v_cvt_f32_f16_e32 v3, v3
	s_delay_alu instid0(VALU_DEP_1) | instskip(NEXT) | instid1(VALU_DEP_3)
	v_add_f32_e32 v6, 0, v3
	v_cmpx_gt_u32_e64 s11, v4
	s_cbranch_execz .LBB14_3
; %bb.2:
	v_dual_mov_b32 v5, 0 :: v_dual_add_nc_u32 v4, s12, v4
	s_delay_alu instid0(VALU_DEP_1) | instskip(NEXT) | instid1(VALU_DEP_1)
	v_lshlrev_b64_e32 v[4:5], 1, v[4:5]
	v_add_co_u32 v8, vcc_lo, s8, v4
	s_wait_alu 0xfffd
	s_delay_alu instid0(VALU_DEP_2)
	v_add_co_ci_u32_e64 v9, null, s9, v5, vcc_lo
	v_add_co_u32 v4, vcc_lo, s4, v4
	v_add_co_u32 v2, s4, s6, v7
	s_wait_alu 0xfffd
	v_add_co_ci_u32_e64 v5, null, s5, v5, vcc_lo
	s_wait_alu 0xf1ff
	v_add_co_ci_u32_e64 v10, null, s7, 0, s4
	s_lshl_b32 s4, s14, 1
	global_load_u16 v8, v[8:9], off
	global_load_u16 v9, v[4:5], off
	s_wait_alu 0xfffe
	v_add_co_u32 v4, vcc_lo, v2, s4
	s_wait_alu 0xfffd
	v_add_co_ci_u32_e64 v5, null, 0, v10, vcc_lo
	global_load_u16 v2, v[4:5], off
	s_wait_loadcnt 0x1
	v_add_f16_e32 v4, v8, v9
	s_wait_loadcnt 0x0
	s_delay_alu instid0(VALU_DEP_1) | instskip(NEXT) | instid1(VALU_DEP_1)
	v_add_f16_e32 v2, v4, v2
	v_cvt_f32_f16_e32 v2, v2
	s_delay_alu instid0(VALU_DEP_1)
	v_add_f32_e32 v6, v6, v2
.LBB14_3:
	s_wait_alu 0xfffe
	s_or_b32 exec_lo, exec_lo, s13
.LBB14_4:
	s_delay_alu instid0(SALU_CYCLE_1) | instskip(SKIP_1) | instid1(VALU_DEP_1)
	s_or_b32 exec_lo, exec_lo, s3
	v_mbcnt_lo_u32_b32 v9, -1, 0
	v_xor_b32_e32 v4, 16, v9
	v_xor_b32_e32 v5, 8, v9
	;; [unrolled: 1-line block ×3, first 2 shown]
	s_delay_alu instid0(VALU_DEP_3)
	v_cmp_gt_i32_e32 vcc_lo, 32, v4
	s_wait_alu 0xfffd
	v_cndmask_b32_e32 v4, v9, v4, vcc_lo
	v_cmp_gt_i32_e32 vcc_lo, 32, v5
	s_wait_alu 0xfffd
	v_cndmask_b32_e32 v5, v9, v5, vcc_lo
	s_delay_alu instid0(VALU_DEP_1)
	v_lshlrev_b32_e32 v5, 2, v5
	v_lshlrev_b32_e32 v4, 2, v4
	ds_bpermute_b32 v8, v4, v6
	s_wait_dscnt 0x0
	v_add_f32_e32 v8, v6, v8
	v_xor_b32_e32 v6, 4, v9
	ds_bpermute_b32 v10, v5, v8
	v_cmp_gt_i32_e32 vcc_lo, 32, v6
	s_wait_alu 0xfffd
	v_cndmask_b32_e32 v6, v9, v6, vcc_lo
	s_wait_dscnt 0x0
	v_add_f32_e32 v10, v8, v10
	v_xor_b32_e32 v8, 2, v9
	s_delay_alu instid0(VALU_DEP_1) | instskip(SKIP_3) | instid1(VALU_DEP_2)
	v_cmp_gt_i32_e32 vcc_lo, 32, v8
	s_wait_alu 0xfffd
	v_cndmask_b32_e32 v8, v9, v8, vcc_lo
	v_cmp_gt_i32_e32 vcc_lo, 32, v12
	v_lshlrev_b32_e32 v8, 2, v8
	s_wait_alu 0xfffd
	v_cndmask_b32_e32 v9, v9, v12, vcc_lo
	s_delay_alu instid0(VALU_DEP_1)
	v_lshlrev_b32_e32 v9, 2, v9
	v_lshlrev_b32_e32 v6, 2, v6
	ds_bpermute_b32 v11, v6, v10
	s_wait_dscnt 0x0
	v_add_f32_e32 v10, v10, v11
	ds_bpermute_b32 v11, v8, v10
	s_wait_dscnt 0x0
	v_dual_add_f32 v12, v10, v11 :: v_dual_and_b32 v11, 31, v0
	v_lshrrev_b32_e32 v10, 3, v0
	ds_bpermute_b32 v13, v9, v12
	v_cmp_eq_u32_e64 s3, 0, v11
	s_and_saveexec_b32 s4, s3
	s_cbranch_execz .LBB14_6
; %bb.5:
	s_wait_dscnt 0x0
	v_add_f32_e32 v12, v12, v13
	ds_store_b32 v10, v12
.LBB14_6:
	s_wait_alu 0xfffe
	s_or_b32 exec_lo, exec_lo, s4
	s_wait_dscnt 0x0
	s_barrier_signal -1
	s_barrier_wait -1
	global_inv scope:SCOPE_SE
	s_load_b32 s6, s[0:1], 0x3c
	v_dual_mov_b32 v12, 0 :: v_dual_lshlrev_b32 v11, 2, v11
	s_wait_kmcnt 0x0
	s_bfe_u32 s4, s6, 0xb0005
	s_wait_alu 0xfffe
	v_cmp_gt_u32_e64 s4, s4, v0
	s_and_saveexec_b32 s5, s4
; %bb.7:
	ds_load_b32 v12, v11
; %bb.8:
	s_wait_alu 0xfffe
	s_or_b32 exec_lo, exec_lo, s5
	s_wait_dscnt 0x0
	ds_bpermute_b32 v13, v4, v12
	v_cmp_eq_u32_e64 s5, 0, v0
	s_cvt_f32_i32 s7, s11
	s_wait_dscnt 0x0
	v_add_f32_e32 v12, v12, v13
	ds_bpermute_b32 v13, v5, v12
	s_wait_dscnt 0x0
	v_add_f32_e32 v12, v12, v13
	ds_bpermute_b32 v13, v6, v12
	;; [unrolled: 3-line block ×4, first 2 shown]
	s_and_saveexec_b32 s13, s5
	s_cbranch_execz .LBB14_10
; %bb.9:
	s_wait_dscnt 0x0
	v_add_f32_e32 v12, v12, v13
	s_wait_alu 0xfffe
	s_delay_alu instid0(VALU_DEP_1) | instskip(SKIP_1) | instid1(VALU_DEP_2)
	v_div_scale_f32 v13, null, s7, s7, v12
	v_div_scale_f32 v16, vcc_lo, v12, s7, v12
	v_rcp_f32_e32 v14, v13
	s_delay_alu instid0(TRANS32_DEP_1) | instskip(NEXT) | instid1(VALU_DEP_1)
	v_fma_f32 v15, -v13, v14, 1.0
	v_fmac_f32_e32 v14, v15, v14
	s_delay_alu instid0(VALU_DEP_1) | instskip(NEXT) | instid1(VALU_DEP_1)
	v_mul_f32_e32 v15, v16, v14
	v_fma_f32 v17, -v13, v15, v16
	s_delay_alu instid0(VALU_DEP_1) | instskip(NEXT) | instid1(VALU_DEP_1)
	v_fmac_f32_e32 v15, v17, v14
	v_fma_f32 v13, -v13, v15, v16
	s_wait_alu 0xfffd
	s_delay_alu instid0(VALU_DEP_1) | instskip(NEXT) | instid1(VALU_DEP_1)
	v_div_fmas_f32 v13, v13, v14, v15
	v_div_fixup_f32 v12, v13, s7, v12
	v_mov_b32_e32 v13, 0
	ds_store_b32 v13, v12 offset:132
.LBB14_10:
	s_wait_alu 0xfffe
	s_or_b32 exec_lo, exec_lo, s13
	s_and_b32 s6, 0xffff, s6
	v_mov_b32_e32 v12, 0
	s_wait_alu 0xfffe
	v_add_nc_u32_e32 v0, s6, v0
	s_wait_loadcnt_dscnt 0x0
	s_barrier_signal -1
	s_barrier_wait -1
	global_inv scope:SCOPE_SE
	s_and_saveexec_b32 s13, s2
	s_cbranch_execz .LBB14_12
; %bb.11:
	v_mov_b32_e32 v12, 0
	v_cmp_gt_u32_e32 vcc_lo, s11, v0
	ds_load_b32 v12, v12 offset:132
	s_wait_dscnt 0x0
	v_sub_f32_e32 v13, v3, v12
	s_delay_alu instid0(VALU_DEP_1) | instskip(NEXT) | instid1(VALU_DEP_1)
	v_dual_sub_f32 v12, v2, v12 :: v_dual_mul_f32 v13, v13, v13
	v_fma_f32 v12, v12, v12, v13
	s_wait_alu 0xfffd
	s_delay_alu instid0(VALU_DEP_1)
	v_cndmask_b32_e32 v12, v13, v12, vcc_lo
.LBB14_12:
	s_wait_alu 0xfffe
	s_or_b32 exec_lo, exec_lo, s13
	ds_bpermute_b32 v13, v4, v12
	s_wait_dscnt 0x0
	v_add_f32_e32 v12, v12, v13
	ds_bpermute_b32 v13, v5, v12
	s_wait_dscnt 0x0
	v_add_f32_e32 v12, v12, v13
	;; [unrolled: 3-line block ×4, first 2 shown]
	ds_bpermute_b32 v13, v9, v12
	s_and_saveexec_b32 s13, s3
	s_cbranch_execz .LBB14_14
; %bb.13:
	s_wait_dscnt 0x0
	v_add_f32_e32 v12, v12, v13
	ds_store_b32 v10, v12
.LBB14_14:
	s_wait_alu 0xfffe
	s_or_b32 exec_lo, exec_lo, s13
	v_mov_b32_e32 v10, 0
	s_wait_loadcnt_dscnt 0x0
	s_barrier_signal -1
	s_barrier_wait -1
	global_inv scope:SCOPE_SE
	s_and_saveexec_b32 s3, s4
; %bb.15:
	ds_load_b32 v10, v11
; %bb.16:
	s_or_b32 exec_lo, exec_lo, s3
	s_wait_dscnt 0x0
	ds_bpermute_b32 v4, v4, v10
	s_wait_dscnt 0x0
	v_add_f32_e32 v4, v10, v4
	ds_bpermute_b32 v5, v5, v4
	s_wait_dscnt 0x0
	v_add_f32_e32 v4, v4, v5
	;; [unrolled: 3-line block ×4, first 2 shown]
	ds_bpermute_b32 v5, v9, v4
	s_and_saveexec_b32 s3, s5
	s_cbranch_execz .LBB14_18
; %bb.17:
	s_wait_dscnt 0x0
	v_add_f32_e32 v4, v4, v5
	s_delay_alu instid0(VALU_DEP_1) | instskip(SKIP_1) | instid1(VALU_DEP_2)
	v_div_scale_f32 v5, null, s7, s7, v4
	v_div_scale_f32 v9, vcc_lo, v4, s7, v4
	v_rcp_f32_e32 v6, v5
	s_delay_alu instid0(TRANS32_DEP_1) | instskip(NEXT) | instid1(VALU_DEP_1)
	v_fma_f32 v8, -v5, v6, 1.0
	v_fmac_f32_e32 v6, v8, v6
	s_delay_alu instid0(VALU_DEP_1) | instskip(NEXT) | instid1(VALU_DEP_1)
	v_mul_f32_e32 v8, v9, v6
	v_fma_f32 v10, -v5, v8, v9
	s_delay_alu instid0(VALU_DEP_1) | instskip(NEXT) | instid1(VALU_DEP_1)
	v_fmac_f32_e32 v8, v10, v6
	v_fma_f32 v5, -v5, v8, v9
	s_wait_alu 0xfffd
	s_delay_alu instid0(VALU_DEP_1) | instskip(NEXT) | instid1(VALU_DEP_1)
	v_div_fmas_f32 v5, v5, v6, v8
	v_div_fixup_f32 v4, v5, s7, v4
	s_delay_alu instid0(VALU_DEP_1)
	v_dual_mov_b32 v5, 0 :: v_dual_add_f32 v4, s10, v4
	ds_store_b32 v5, v4 offset:128
.LBB14_18:
	s_or_b32 exec_lo, exec_lo, s3
	s_wait_loadcnt_dscnt 0x0
	s_barrier_signal -1
	s_barrier_wait -1
	global_inv scope:SCOPE_SE
	s_and_saveexec_b32 s3, s2
	s_cbranch_execz .LBB14_21
; %bb.19:
	s_load_b128 s[0:3], s[0:1], 0x18
	v_mov_b32_e32 v4, 0
	s_wait_kmcnt 0x0
	s_clause 0x1
	global_load_u16 v10, v7, s[0:1]
	global_load_u16 v11, v7, s[2:3]
	ds_load_b64 v[5:6], v4 offset:128
	s_wait_dscnt 0x0
	v_readfirstlane_b32 s4, v5
	v_sub_f32_e32 v5, v3, v6
	v_mov_b32_e32 v3, v1
	s_cmp_lt_f32 s4, 0x800000
	s_mul_f32 s5, s4, 0x4b800000
	s_delay_alu instid0(VALU_DEP_1) | instskip(SKIP_1) | instid1(SALU_CYCLE_1)
	v_lshlrev_b64_e32 v[8:9], 1, v[3:4]
	s_wait_alu 0xfffe
	s_cselect_b32 s4, s5, s4
	s_wait_alu 0xfffe
	v_s_rsq_f32 s4, s4
	s_delay_alu instid0(VALU_DEP_1) | instskip(SKIP_3) | instid1(TRANS32_DEP_1)
	v_add_co_u32 v8, vcc_lo, s8, v8
	s_wait_alu 0xfffd
	v_add_co_ci_u32_e64 v9, null, s9, v9, vcc_lo
	v_cmp_gt_u32_e32 vcc_lo, s11, v0
	s_mul_f32 s5, s4, 0x45800000
	s_wait_alu 0xfffe
	s_delay_alu instid0(SALU_CYCLE_2) | instskip(SKIP_3) | instid1(VALU_DEP_1)
	s_cselect_b32 s4, s5, s4
	s_wait_alu 0xfffe
	v_mul_f32_e32 v1, s4, v5
	s_wait_loadcnt 0x0
	v_fma_mixlo_f16 v1, v1, v10, v11 op_sel_hi:[0,1,1]
	global_store_b16 v[8:9], v1, off
	s_and_b32 exec_lo, exec_lo, vcc_lo
	s_cbranch_execz .LBB14_21
; %bb.20:
	v_add_co_u32 v1, s0, s0, v7
	s_wait_alu 0xf1ff
	v_add_co_ci_u32_e64 v3, null, s1, 0, s0
	v_add_co_u32 v5, s0, s2, v7
	s_wait_alu 0xf1ff
	v_add_co_ci_u32_e64 v10, null, s3, 0, s0
	s_lshl_b32 s0, s6, 1
	s_wait_alu 0xfffe
	v_add_co_u32 v7, vcc_lo, v1, s0
	s_wait_alu 0xfffd
	v_add_co_ci_u32_e64 v8, null, 0, v3, vcc_lo
	v_add_co_u32 v9, vcc_lo, v5, s0
	s_wait_alu 0xfffd
	v_add_co_ci_u32_e64 v10, null, 0, v10, vcc_lo
	global_load_u16 v5, v[7:8], off
	global_load_u16 v7, v[9:10], off
	v_sub_f32_e32 v1, v2, v6
	s_delay_alu instid0(VALU_DEP_1) | instskip(NEXT) | instid1(VALU_DEP_1)
	v_dual_mul_f32 v2, s4, v1 :: v_dual_add_nc_u32 v3, s12, v0
	v_lshlrev_b64_e32 v[0:1], 1, v[3:4]
	s_delay_alu instid0(VALU_DEP_1) | instskip(SKIP_1) | instid1(VALU_DEP_2)
	v_add_co_u32 v0, vcc_lo, s8, v0
	s_wait_alu 0xfffd
	v_add_co_ci_u32_e64 v1, null, s9, v1, vcc_lo
	s_wait_loadcnt 0x0
	v_fma_mixlo_f16 v2, v2, v5, v7 op_sel_hi:[0,1,1]
	global_store_b16 v[0:1], v2, off
.LBB14_21:
	s_endpgm
	.section	.rodata,"a",@progbits
	.p2align	6, 0x0
	.amdhsa_kernel _Z28addBiasResidualPostLayerNormI6__halfLi2ELi32EEvPT_PKS1_S4_S4_S4_fi
		.amdhsa_group_segment_fixed_size 136
		.amdhsa_private_segment_fixed_size 0
		.amdhsa_kernarg_size 304
		.amdhsa_user_sgpr_count 2
		.amdhsa_user_sgpr_dispatch_ptr 0
		.amdhsa_user_sgpr_queue_ptr 0
		.amdhsa_user_sgpr_kernarg_segment_ptr 1
		.amdhsa_user_sgpr_dispatch_id 0
		.amdhsa_user_sgpr_private_segment_size 0
		.amdhsa_wavefront_size32 1
		.amdhsa_uses_dynamic_stack 0
		.amdhsa_enable_private_segment 0
		.amdhsa_system_sgpr_workgroup_id_x 1
		.amdhsa_system_sgpr_workgroup_id_y 0
		.amdhsa_system_sgpr_workgroup_id_z 0
		.amdhsa_system_sgpr_workgroup_info 0
		.amdhsa_system_vgpr_workitem_id 0
		.amdhsa_next_free_vgpr 18
		.amdhsa_next_free_sgpr 15
		.amdhsa_reserve_vcc 1
		.amdhsa_float_round_mode_32 0
		.amdhsa_float_round_mode_16_64 0
		.amdhsa_float_denorm_mode_32 3
		.amdhsa_float_denorm_mode_16_64 3
		.amdhsa_fp16_overflow 0
		.amdhsa_workgroup_processor_mode 1
		.amdhsa_memory_ordered 1
		.amdhsa_forward_progress 1
		.amdhsa_inst_pref_size 15
		.amdhsa_round_robin_scheduling 0
		.amdhsa_exception_fp_ieee_invalid_op 0
		.amdhsa_exception_fp_denorm_src 0
		.amdhsa_exception_fp_ieee_div_zero 0
		.amdhsa_exception_fp_ieee_overflow 0
		.amdhsa_exception_fp_ieee_underflow 0
		.amdhsa_exception_fp_ieee_inexact 0
		.amdhsa_exception_int_div_zero 0
	.end_amdhsa_kernel
	.section	.text._Z28addBiasResidualPostLayerNormI6__halfLi2ELi32EEvPT_PKS1_S4_S4_S4_fi,"axG",@progbits,_Z28addBiasResidualPostLayerNormI6__halfLi2ELi32EEvPT_PKS1_S4_S4_S4_fi,comdat
.Lfunc_end14:
	.size	_Z28addBiasResidualPostLayerNormI6__halfLi2ELi32EEvPT_PKS1_S4_S4_S4_fi, .Lfunc_end14-_Z28addBiasResidualPostLayerNormI6__halfLi2ELi32EEvPT_PKS1_S4_S4_S4_fi
                                        ; -- End function
	.set _Z28addBiasResidualPostLayerNormI6__halfLi2ELi32EEvPT_PKS1_S4_S4_S4_fi.num_vgpr, 18
	.set _Z28addBiasResidualPostLayerNormI6__halfLi2ELi32EEvPT_PKS1_S4_S4_S4_fi.num_agpr, 0
	.set _Z28addBiasResidualPostLayerNormI6__halfLi2ELi32EEvPT_PKS1_S4_S4_S4_fi.numbered_sgpr, 15
	.set _Z28addBiasResidualPostLayerNormI6__halfLi2ELi32EEvPT_PKS1_S4_S4_S4_fi.num_named_barrier, 0
	.set _Z28addBiasResidualPostLayerNormI6__halfLi2ELi32EEvPT_PKS1_S4_S4_S4_fi.private_seg_size, 0
	.set _Z28addBiasResidualPostLayerNormI6__halfLi2ELi32EEvPT_PKS1_S4_S4_S4_fi.uses_vcc, 1
	.set _Z28addBiasResidualPostLayerNormI6__halfLi2ELi32EEvPT_PKS1_S4_S4_S4_fi.uses_flat_scratch, 0
	.set _Z28addBiasResidualPostLayerNormI6__halfLi2ELi32EEvPT_PKS1_S4_S4_S4_fi.has_dyn_sized_stack, 0
	.set _Z28addBiasResidualPostLayerNormI6__halfLi2ELi32EEvPT_PKS1_S4_S4_S4_fi.has_recursion, 0
	.set _Z28addBiasResidualPostLayerNormI6__halfLi2ELi32EEvPT_PKS1_S4_S4_S4_fi.has_indirect_call, 0
	.section	.AMDGPU.csdata,"",@progbits
; Kernel info:
; codeLenInByte = 1876
; TotalNumSgprs: 17
; NumVgprs: 18
; ScratchSize: 0
; MemoryBound: 0
; FloatMode: 240
; IeeeMode: 1
; LDSByteSize: 136 bytes/workgroup (compile time only)
; SGPRBlocks: 0
; VGPRBlocks: 2
; NumSGPRsForWavesPerEU: 17
; NumVGPRsForWavesPerEU: 18
; Occupancy: 16
; WaveLimiterHint : 0
; COMPUTE_PGM_RSRC2:SCRATCH_EN: 0
; COMPUTE_PGM_RSRC2:USER_SGPR: 2
; COMPUTE_PGM_RSRC2:TRAP_HANDLER: 0
; COMPUTE_PGM_RSRC2:TGID_X_EN: 1
; COMPUTE_PGM_RSRC2:TGID_Y_EN: 0
; COMPUTE_PGM_RSRC2:TGID_Z_EN: 0
; COMPUTE_PGM_RSRC2:TIDIG_COMP_CNT: 0
	.section	.text._Z35generalAddBiasResidualPostLayerNormI6__halfLi32EEvPT_PKS1_S4_S4_S4_fi,"axG",@progbits,_Z35generalAddBiasResidualPostLayerNormI6__halfLi32EEvPT_PKS1_S4_S4_S4_fi,comdat
	.protected	_Z35generalAddBiasResidualPostLayerNormI6__halfLi32EEvPT_PKS1_S4_S4_S4_fi ; -- Begin function _Z35generalAddBiasResidualPostLayerNormI6__halfLi32EEvPT_PKS1_S4_S4_S4_fi
	.globl	_Z35generalAddBiasResidualPostLayerNormI6__halfLi32EEvPT_PKS1_S4_S4_S4_fi
	.p2align	8
	.type	_Z35generalAddBiasResidualPostLayerNormI6__halfLi32EEvPT_PKS1_S4_S4_S4_fi,@function
_Z35generalAddBiasResidualPostLayerNormI6__halfLi32EEvPT_PKS1_S4_S4_S4_fi: ; @_Z35generalAddBiasResidualPostLayerNormI6__halfLi32EEvPT_PKS1_S4_S4_S4_fi
; %bb.0:
	s_clause 0x2
	s_load_b64 s[14:15], s[0:1], 0x28
	s_load_b64 s[12:13], s[0:1], 0x0
	s_load_b128 s[4:7], s[0:1], 0x18
	v_dual_mov_b32 v4, 0 :: v_dual_lshlrev_b32 v3, 2, v0
	s_wait_kmcnt 0x0
	s_lshr_b32 s2, s15, 31
	s_mul_i32 s17, s15, ttmp9
	s_add_co_i32 s2, s15, s2
	s_delay_alu instid0(SALU_CYCLE_1) | instskip(NEXT) | instid1(SALU_CYCLE_1)
	s_ashr_i32 s16, s2, 1
	v_cmp_gt_i32_e64 s2, s16, v0
	s_and_saveexec_b32 s18, s2
	s_cbranch_execz .LBB15_4
; %bb.1:
	s_clause 0x1
	s_load_b128 s[8:11], s[0:1], 0x8
	s_load_b32 s3, s[0:1], 0x3c
	v_dual_mov_b32 v4, 0 :: v_dual_mov_b32 v5, v0
	s_lshr_b32 s19, s17, 1
	s_wait_kmcnt 0x0
	v_add_co_u32 v1, s10, s10, v3
	s_wait_alu 0xf1ff
	v_add_co_ci_u32_e64 v2, null, s11, 0, s10
	s_and_b32 s11, s3, 0xffff
	s_mov_b32 s10, 0
	s_wait_alu 0xfffe
	s_lshl_b32 s20, s11, 2
.LBB15_2:                               ; =>This Inner Loop Header: Depth=1
	v_add_nc_u32_e32 v6, s19, v5
	s_delay_alu instid0(VALU_DEP_1) | instskip(NEXT) | instid1(VALU_DEP_1)
	v_ashrrev_i32_e32 v7, 31, v6
	v_lshlrev_b64_e32 v[6:7], 2, v[6:7]
	s_delay_alu instid0(VALU_DEP_1) | instskip(SKIP_1) | instid1(VALU_DEP_2)
	v_add_co_u32 v8, vcc_lo, s12, v6
	s_wait_alu 0xfffd
	v_add_co_ci_u32_e64 v9, null, s13, v7, vcc_lo
	v_add_co_u32 v6, vcc_lo, s8, v6
	s_wait_alu 0xfffd
	v_add_co_ci_u32_e64 v7, null, s9, v7, vcc_lo
	global_load_b32 v10, v[8:9], off
	global_load_b32 v6, v[6:7], off
	;; [unrolled: 1-line block ×3, first 2 shown]
	v_add_co_u32 v1, vcc_lo, v1, s20
	s_wait_alu 0xfffd
	v_add_co_ci_u32_e64 v2, null, 0, v2, vcc_lo
	s_wait_loadcnt 0x1
	v_pk_add_f16 v6, v10, v6
	s_wait_loadcnt 0x0
	s_delay_alu instid0(VALU_DEP_1) | instskip(NEXT) | instid1(VALU_DEP_1)
	v_pk_add_f16 v6, v6, v7
	v_lshrrev_b32_e32 v7, 16, v6
	v_cvt_f32_f16_e32 v10, v6
	v_add_nc_u32_e32 v5, s11, v5
	global_store_b32 v[8:9], v6, off
	v_cvt_f32_f16_e32 v7, v7
	v_add_f32_e32 v4, v4, v10
	v_cmp_le_i32_e64 s3, s16, v5
	s_delay_alu instid0(VALU_DEP_2)
	v_add_f32_e32 v4, v4, v7
	s_or_b32 s10, s3, s10
	s_wait_alu 0xfffe
	s_and_not1_b32 exec_lo, exec_lo, s10
	s_cbranch_execnz .LBB15_2
; %bb.3:
	s_or_b32 exec_lo, exec_lo, s10
.LBB15_4:
	s_delay_alu instid0(SALU_CYCLE_1) | instskip(SKIP_1) | instid1(VALU_DEP_1)
	s_or_b32 exec_lo, exec_lo, s18
	v_mbcnt_lo_u32_b32 v6, -1, 0
	v_xor_b32_e32 v1, 16, v6
	v_xor_b32_e32 v2, 8, v6
	;; [unrolled: 1-line block ×3, first 2 shown]
	s_delay_alu instid0(VALU_DEP_3)
	v_cmp_gt_i32_e32 vcc_lo, 32, v1
	s_wait_alu 0xfffd
	v_cndmask_b32_e32 v1, v6, v1, vcc_lo
	v_cmp_gt_i32_e32 vcc_lo, 32, v2
	s_wait_alu 0xfffd
	v_cndmask_b32_e32 v2, v6, v2, vcc_lo
	s_delay_alu instid0(VALU_DEP_1)
	v_lshlrev_b32_e32 v2, 2, v2
	v_lshlrev_b32_e32 v1, 2, v1
	ds_bpermute_b32 v5, v1, v4
	s_wait_dscnt 0x0
	v_add_f32_e32 v5, v4, v5
	v_xor_b32_e32 v4, 4, v6
	ds_bpermute_b32 v7, v2, v5
	v_cmp_gt_i32_e32 vcc_lo, 32, v4
	s_wait_alu 0xfffd
	v_cndmask_b32_e32 v4, v6, v4, vcc_lo
	s_wait_dscnt 0x0
	s_delay_alu instid0(VALU_DEP_1)
	v_dual_add_f32 v7, v5, v7 :: v_dual_lshlrev_b32 v4, 2, v4
	v_xor_b32_e32 v5, 2, v6
	ds_bpermute_b32 v8, v4, v7
	v_cmp_gt_i32_e32 vcc_lo, 32, v5
	s_wait_alu 0xfffd
	v_cndmask_b32_e32 v5, v6, v5, vcc_lo
	v_cmp_gt_i32_e32 vcc_lo, 32, v9
	s_wait_alu 0xfffd
	v_cndmask_b32_e32 v6, v6, v9, vcc_lo
	s_delay_alu instid0(VALU_DEP_1)
	v_lshlrev_b32_e32 v6, 2, v6
	v_lshlrev_b32_e32 v5, 2, v5
	s_wait_dscnt 0x0
	v_add_f32_e32 v7, v7, v8
	ds_bpermute_b32 v8, v5, v7
	s_wait_dscnt 0x0
	v_add_f32_e32 v9, v7, v8
	v_and_b32_e32 v8, 31, v0
	v_lshrrev_b32_e32 v7, 3, v0
	ds_bpermute_b32 v10, v6, v9
	v_cmp_eq_u32_e64 s3, 0, v8
	s_and_saveexec_b32 s8, s3
	s_cbranch_execz .LBB15_6
; %bb.5:
	s_wait_dscnt 0x0
	v_add_f32_e32 v9, v9, v10
	ds_store_b32 v7, v9
.LBB15_6:
	s_wait_alu 0xfffe
	s_or_b32 exec_lo, exec_lo, s8
	s_wait_storecnt_dscnt 0x0
	s_barrier_signal -1
	s_barrier_wait -1
	global_inv scope:SCOPE_SE
	s_load_b32 s8, s[0:1], 0x3c
	v_dual_mov_b32 v9, 0 :: v_dual_lshlrev_b32 v8, 2, v8
	s_wait_kmcnt 0x0
	s_bfe_u32 s0, s8, 0xb0005
	s_delay_alu instid0(SALU_CYCLE_1)
	v_cmp_gt_u32_e64 s0, s0, v0
	s_and_saveexec_b32 s1, s0
; %bb.7:
	ds_load_b32 v9, v8
; %bb.8:
	s_wait_alu 0xfffe
	s_or_b32 exec_lo, exec_lo, s1
	s_wait_dscnt 0x0
	ds_bpermute_b32 v10, v1, v9
	v_cmp_eq_u32_e64 s1, 0, v0
	s_cvt_f32_i32 s9, s15
	s_wait_dscnt 0x0
	v_add_f32_e32 v9, v9, v10
	ds_bpermute_b32 v10, v2, v9
	s_wait_dscnt 0x0
	v_add_f32_e32 v9, v9, v10
	ds_bpermute_b32 v10, v4, v9
	;; [unrolled: 3-line block ×4, first 2 shown]
	s_and_saveexec_b32 s10, s1
	s_cbranch_execz .LBB15_10
; %bb.9:
	s_wait_dscnt 0x0
	v_add_f32_e32 v9, v9, v10
	s_wait_alu 0xfffe
	s_delay_alu instid0(VALU_DEP_1) | instskip(SKIP_1) | instid1(VALU_DEP_2)
	v_div_scale_f32 v10, null, s9, s9, v9
	v_div_scale_f32 v13, vcc_lo, v9, s9, v9
	v_rcp_f32_e32 v11, v10
	s_delay_alu instid0(TRANS32_DEP_1) | instskip(NEXT) | instid1(VALU_DEP_1)
	v_fma_f32 v12, -v10, v11, 1.0
	v_fmac_f32_e32 v11, v12, v11
	s_delay_alu instid0(VALU_DEP_1) | instskip(NEXT) | instid1(VALU_DEP_1)
	v_mul_f32_e32 v12, v13, v11
	v_fma_f32 v14, -v10, v12, v13
	s_delay_alu instid0(VALU_DEP_1) | instskip(NEXT) | instid1(VALU_DEP_1)
	v_fmac_f32_e32 v12, v14, v11
	v_fma_f32 v10, -v10, v12, v13
	s_wait_alu 0xfffd
	s_delay_alu instid0(VALU_DEP_1) | instskip(NEXT) | instid1(VALU_DEP_1)
	v_div_fmas_f32 v10, v10, v11, v12
	v_div_fixup_f32 v9, v10, s9, v9
	v_mov_b32_e32 v10, 0
	ds_store_b32 v10, v9 offset:132
.LBB15_10:
	s_wait_alu 0xfffe
	s_or_b32 exec_lo, exec_lo, s10
	v_mov_b32_e32 v9, 0
	s_and_b32 s8, 0xffff, s8
	s_wait_loadcnt_dscnt 0x0
	s_barrier_signal -1
	s_barrier_wait -1
	global_inv scope:SCOPE_SE
	s_and_saveexec_b32 s10, s2
	s_cbranch_execz .LBB15_14
; %bb.11:
	v_mov_b32_e32 v9, 0
	v_mov_b32_e32 v11, v0
	s_lshr_b32 s15, s17, 1
	s_mov_b32 s11, 0
	ds_load_b32 v10, v9 offset:132
.LBB15_12:                              ; =>This Inner Loop Header: Depth=1
	v_add_nc_u32_e32 v12, s15, v11
	s_delay_alu instid0(VALU_DEP_1) | instskip(NEXT) | instid1(VALU_DEP_1)
	v_ashrrev_i32_e32 v13, 31, v12
	v_lshlrev_b64_e32 v[12:13], 2, v[12:13]
	s_delay_alu instid0(VALU_DEP_1) | instskip(SKIP_1) | instid1(VALU_DEP_2)
	v_add_co_u32 v12, vcc_lo, s12, v12
	s_wait_alu 0xfffd
	v_add_co_ci_u32_e64 v13, null, s13, v13, vcc_lo
	global_load_b32 v12, v[12:13], off
	s_wait_loadcnt 0x0
	v_cvt_f32_f16_e32 v13, v12
	v_lshrrev_b32_e32 v12, 16, v12
	s_wait_dscnt 0x0
	s_delay_alu instid0(VALU_DEP_2) | instskip(NEXT) | instid1(VALU_DEP_2)
	v_sub_f32_e32 v13, v13, v10
	v_cvt_f32_f16_e32 v12, v12
	s_wait_alu 0xfffe
	v_add_nc_u32_e32 v11, s8, v11
	s_delay_alu instid0(VALU_DEP_2) | instskip(NEXT) | instid1(VALU_DEP_2)
	v_dual_fmac_f32 v9, v13, v13 :: v_dual_sub_f32 v12, v12, v10
	v_cmp_le_i32_e32 vcc_lo, s16, v11
	s_delay_alu instid0(VALU_DEP_2)
	v_fmac_f32_e32 v9, v12, v12
	s_or_b32 s11, vcc_lo, s11
	s_wait_alu 0xfffe
	s_and_not1_b32 exec_lo, exec_lo, s11
	s_cbranch_execnz .LBB15_12
; %bb.13:
	s_or_b32 exec_lo, exec_lo, s11
.LBB15_14:
	s_wait_alu 0xfffe
	s_or_b32 exec_lo, exec_lo, s10
	ds_bpermute_b32 v10, v1, v9
	s_wait_dscnt 0x0
	v_add_f32_e32 v9, v9, v10
	ds_bpermute_b32 v10, v2, v9
	s_wait_dscnt 0x0
	v_add_f32_e32 v9, v9, v10
	ds_bpermute_b32 v10, v4, v9
	s_wait_dscnt 0x0
	v_add_f32_e32 v9, v9, v10
	ds_bpermute_b32 v10, v5, v9
	s_wait_dscnt 0x0
	v_add_f32_e32 v9, v9, v10
	ds_bpermute_b32 v10, v6, v9
	s_and_saveexec_b32 s10, s3
	s_cbranch_execz .LBB15_16
; %bb.15:
	s_wait_dscnt 0x0
	v_add_f32_e32 v9, v9, v10
	ds_store_b32 v7, v9
.LBB15_16:
	s_wait_alu 0xfffe
	s_or_b32 exec_lo, exec_lo, s10
	v_mov_b32_e32 v7, 0
	s_wait_loadcnt_dscnt 0x0
	s_barrier_signal -1
	s_barrier_wait -1
	global_inv scope:SCOPE_SE
	s_and_saveexec_b32 s3, s0
; %bb.17:
	ds_load_b32 v7, v8
; %bb.18:
	s_or_b32 exec_lo, exec_lo, s3
	s_wait_dscnt 0x0
	ds_bpermute_b32 v1, v1, v7
	s_wait_dscnt 0x0
	v_add_f32_e32 v1, v7, v1
	ds_bpermute_b32 v2, v2, v1
	s_wait_dscnt 0x0
	v_add_f32_e32 v1, v1, v2
	;; [unrolled: 3-line block ×4, first 2 shown]
	ds_bpermute_b32 v2, v6, v1
	s_and_saveexec_b32 s0, s1
	s_cbranch_execz .LBB15_20
; %bb.19:
	s_wait_dscnt 0x0
	v_add_f32_e32 v1, v1, v2
	s_delay_alu instid0(VALU_DEP_1) | instskip(SKIP_1) | instid1(VALU_DEP_2)
	v_div_scale_f32 v2, null, s9, s9, v1
	v_div_scale_f32 v6, vcc_lo, v1, s9, v1
	v_rcp_f32_e32 v4, v2
	s_delay_alu instid0(TRANS32_DEP_1) | instskip(NEXT) | instid1(VALU_DEP_1)
	v_fma_f32 v5, -v2, v4, 1.0
	v_fmac_f32_e32 v4, v5, v4
	s_delay_alu instid0(VALU_DEP_1) | instskip(NEXT) | instid1(VALU_DEP_1)
	v_mul_f32_e32 v5, v6, v4
	v_fma_f32 v7, -v2, v5, v6
	s_delay_alu instid0(VALU_DEP_1) | instskip(NEXT) | instid1(VALU_DEP_1)
	v_fmac_f32_e32 v5, v7, v4
	v_fma_f32 v2, -v2, v5, v6
	s_wait_alu 0xfffd
	s_delay_alu instid0(VALU_DEP_1) | instskip(NEXT) | instid1(VALU_DEP_1)
	v_div_fmas_f32 v2, v2, v4, v5
	v_div_fixup_f32 v1, v2, s9, v1
	s_delay_alu instid0(VALU_DEP_1) | instskip(NEXT) | instid1(VALU_DEP_1)
	v_add_f32_e32 v1, s14, v1
	v_mul_f32_e32 v2, 0x4b800000, v1
	v_cmp_gt_f32_e32 vcc_lo, 0x800000, v1
	s_wait_alu 0xfffd
	s_delay_alu instid0(VALU_DEP_2) | instskip(NEXT) | instid1(VALU_DEP_1)
	v_cndmask_b32_e32 v1, v1, v2, vcc_lo
	v_rsq_f32_e32 v1, v1
	s_delay_alu instid0(TRANS32_DEP_1) | instskip(NEXT) | instid1(VALU_DEP_1)
	v_mul_f32_e32 v2, 0x45800000, v1
	v_dual_cndmask_b32 v1, v1, v2 :: v_dual_mov_b32 v2, 0
	ds_store_b32 v2, v1 offset:128
.LBB15_20:
	s_wait_alu 0xfffe
	s_or_b32 exec_lo, exec_lo, s0
	s_wait_loadcnt_dscnt 0x0
	s_barrier_signal -1
	s_barrier_wait -1
	global_inv scope:SCOPE_SE
	s_and_saveexec_b32 s0, s2
	s_cbranch_execz .LBB15_23
; %bb.21:
	v_mov_b32_e32 v4, 0
	s_lshr_b32 s1, s17, 1
	s_mov_b32 s2, 0
	s_lshl_b32 s3, s8, 2
	ds_load_b64 v[1:2], v4 offset:128
.LBB15_22:                              ; =>This Inner Loop Header: Depth=1
	s_wait_alu 0xfffe
	v_add_nc_u32_e32 v5, s1, v0
	s_delay_alu instid0(VALU_DEP_1) | instskip(NEXT) | instid1(VALU_DEP_1)
	v_ashrrev_i32_e32 v6, 31, v5
	v_lshlrev_b64_e32 v[5:6], 2, v[5:6]
	s_delay_alu instid0(VALU_DEP_1) | instskip(SKIP_1) | instid1(VALU_DEP_2)
	v_add_co_u32 v5, vcc_lo, s12, v5
	s_wait_alu 0xfffd
	v_add_co_ci_u32_e64 v6, null, s13, v6, vcc_lo
	v_add_co_u32 v7, vcc_lo, s4, v3
	s_wait_alu 0xfffd
	v_add_co_ci_u32_e64 v8, null, s5, v4, vcc_lo
	global_load_b32 v11, v[5:6], off
	v_add_co_u32 v9, vcc_lo, s6, v3
	s_wait_alu 0xfffd
	v_add_co_ci_u32_e64 v10, null, s7, v4, vcc_lo
	global_load_b32 v7, v[7:8], off
	global_load_b32 v8, v[9:10], off
	v_add_co_u32 v3, vcc_lo, v3, s3
	s_wait_alu 0xfffd
	v_add_co_ci_u32_e64 v4, null, 0, v4, vcc_lo
	s_wait_loadcnt 0x2
	v_lshrrev_b32_e32 v9, 16, v11
	v_cvt_f32_f16_e32 v10, v11
	s_delay_alu instid0(VALU_DEP_2) | instskip(SKIP_1) | instid1(VALU_DEP_2)
	v_cvt_f32_f16_e32 v9, v9
	s_wait_dscnt 0x0
	v_sub_f32_e32 v10, v10, v2
	s_delay_alu instid0(VALU_DEP_1) | instskip(NEXT) | instid1(VALU_DEP_1)
	v_dual_sub_f32 v9, v9, v2 :: v_dual_mul_f32 v10, v10, v1
	v_dual_mul_f32 v9, v1, v9 :: v_dual_add_nc_u32 v0, s8, v0
	s_wait_loadcnt 0x0
	s_delay_alu instid0(VALU_DEP_2) | instskip(NEXT) | instid1(VALU_DEP_2)
	v_fma_mixlo_f16 v10, v10, v7, v8 op_sel_hi:[0,1,1]
	v_cmp_le_i32_e64 s0, s16, v0
	s_delay_alu instid0(VALU_DEP_2)
	v_fma_mixhi_f16 v10, v9, v7, v8 op_sel:[0,1,1] op_sel_hi:[0,1,1]
	s_or_b32 s2, s0, s2
	global_store_b32 v[5:6], v10, off
	s_wait_alu 0xfffe
	s_and_not1_b32 exec_lo, exec_lo, s2
	s_cbranch_execnz .LBB15_22
.LBB15_23:
	s_endpgm
	.section	.rodata,"a",@progbits
	.p2align	6, 0x0
	.amdhsa_kernel _Z35generalAddBiasResidualPostLayerNormI6__halfLi32EEvPT_PKS1_S4_S4_S4_fi
		.amdhsa_group_segment_fixed_size 136
		.amdhsa_private_segment_fixed_size 0
		.amdhsa_kernarg_size 304
		.amdhsa_user_sgpr_count 2
		.amdhsa_user_sgpr_dispatch_ptr 0
		.amdhsa_user_sgpr_queue_ptr 0
		.amdhsa_user_sgpr_kernarg_segment_ptr 1
		.amdhsa_user_sgpr_dispatch_id 0
		.amdhsa_user_sgpr_private_segment_size 0
		.amdhsa_wavefront_size32 1
		.amdhsa_uses_dynamic_stack 0
		.amdhsa_enable_private_segment 0
		.amdhsa_system_sgpr_workgroup_id_x 1
		.amdhsa_system_sgpr_workgroup_id_y 0
		.amdhsa_system_sgpr_workgroup_id_z 0
		.amdhsa_system_sgpr_workgroup_info 0
		.amdhsa_system_vgpr_workitem_id 0
		.amdhsa_next_free_vgpr 15
		.amdhsa_next_free_sgpr 21
		.amdhsa_reserve_vcc 1
		.amdhsa_float_round_mode_32 0
		.amdhsa_float_round_mode_16_64 0
		.amdhsa_float_denorm_mode_32 3
		.amdhsa_float_denorm_mode_16_64 3
		.amdhsa_fp16_overflow 0
		.amdhsa_workgroup_processor_mode 1
		.amdhsa_memory_ordered 1
		.amdhsa_forward_progress 1
		.amdhsa_inst_pref_size 15
		.amdhsa_round_robin_scheduling 0
		.amdhsa_exception_fp_ieee_invalid_op 0
		.amdhsa_exception_fp_denorm_src 0
		.amdhsa_exception_fp_ieee_div_zero 0
		.amdhsa_exception_fp_ieee_overflow 0
		.amdhsa_exception_fp_ieee_underflow 0
		.amdhsa_exception_fp_ieee_inexact 0
		.amdhsa_exception_int_div_zero 0
	.end_amdhsa_kernel
	.section	.text._Z35generalAddBiasResidualPostLayerNormI6__halfLi32EEvPT_PKS1_S4_S4_S4_fi,"axG",@progbits,_Z35generalAddBiasResidualPostLayerNormI6__halfLi32EEvPT_PKS1_S4_S4_S4_fi,comdat
.Lfunc_end15:
	.size	_Z35generalAddBiasResidualPostLayerNormI6__halfLi32EEvPT_PKS1_S4_S4_S4_fi, .Lfunc_end15-_Z35generalAddBiasResidualPostLayerNormI6__halfLi32EEvPT_PKS1_S4_S4_S4_fi
                                        ; -- End function
	.set _Z35generalAddBiasResidualPostLayerNormI6__halfLi32EEvPT_PKS1_S4_S4_S4_fi.num_vgpr, 15
	.set _Z35generalAddBiasResidualPostLayerNormI6__halfLi32EEvPT_PKS1_S4_S4_S4_fi.num_agpr, 0
	.set _Z35generalAddBiasResidualPostLayerNormI6__halfLi32EEvPT_PKS1_S4_S4_S4_fi.numbered_sgpr, 21
	.set _Z35generalAddBiasResidualPostLayerNormI6__halfLi32EEvPT_PKS1_S4_S4_S4_fi.num_named_barrier, 0
	.set _Z35generalAddBiasResidualPostLayerNormI6__halfLi32EEvPT_PKS1_S4_S4_S4_fi.private_seg_size, 0
	.set _Z35generalAddBiasResidualPostLayerNormI6__halfLi32EEvPT_PKS1_S4_S4_S4_fi.uses_vcc, 1
	.set _Z35generalAddBiasResidualPostLayerNormI6__halfLi32EEvPT_PKS1_S4_S4_S4_fi.uses_flat_scratch, 0
	.set _Z35generalAddBiasResidualPostLayerNormI6__halfLi32EEvPT_PKS1_S4_S4_S4_fi.has_dyn_sized_stack, 0
	.set _Z35generalAddBiasResidualPostLayerNormI6__halfLi32EEvPT_PKS1_S4_S4_S4_fi.has_recursion, 0
	.set _Z35generalAddBiasResidualPostLayerNormI6__halfLi32EEvPT_PKS1_S4_S4_S4_fi.has_indirect_call, 0
	.section	.AMDGPU.csdata,"",@progbits
; Kernel info:
; codeLenInByte = 1856
; TotalNumSgprs: 23
; NumVgprs: 15
; ScratchSize: 0
; MemoryBound: 0
; FloatMode: 240
; IeeeMode: 1
; LDSByteSize: 136 bytes/workgroup (compile time only)
; SGPRBlocks: 0
; VGPRBlocks: 1
; NumSGPRsForWavesPerEU: 23
; NumVGPRsForWavesPerEU: 15
; Occupancy: 16
; WaveLimiterHint : 0
; COMPUTE_PGM_RSRC2:SCRATCH_EN: 0
; COMPUTE_PGM_RSRC2:USER_SGPR: 2
; COMPUTE_PGM_RSRC2:TRAP_HANDLER: 0
; COMPUTE_PGM_RSRC2:TGID_X_EN: 1
; COMPUTE_PGM_RSRC2:TGID_Y_EN: 0
; COMPUTE_PGM_RSRC2:TGID_Z_EN: 0
; COMPUTE_PGM_RSRC2:TIDIG_COMP_CNT: 0
	.section	.text._Z30addBiasResidualPostLayerNormV2I14__hip_bfloat16Li64EEvPT_PKS1_S4_S4_S4_fi,"axG",@progbits,_Z30addBiasResidualPostLayerNormV2I14__hip_bfloat16Li64EEvPT_PKS1_S4_S4_S4_fi,comdat
	.protected	_Z30addBiasResidualPostLayerNormV2I14__hip_bfloat16Li64EEvPT_PKS1_S4_S4_S4_fi ; -- Begin function _Z30addBiasResidualPostLayerNormV2I14__hip_bfloat16Li64EEvPT_PKS1_S4_S4_S4_fi
	.globl	_Z30addBiasResidualPostLayerNormV2I14__hip_bfloat16Li64EEvPT_PKS1_S4_S4_S4_fi
	.p2align	8
	.type	_Z30addBiasResidualPostLayerNormV2I14__hip_bfloat16Li64EEvPT_PKS1_S4_S4_S4_fi,@function
_Z30addBiasResidualPostLayerNormV2I14__hip_bfloat16Li64EEvPT_PKS1_S4_S4_S4_fi: ; @_Z30addBiasResidualPostLayerNormV2I14__hip_bfloat16Li64EEvPT_PKS1_S4_S4_S4_fi
; %bb.0:
	s_clause 0x3
	s_load_b64 s[6:7], s[0:1], 0x28
	s_load_b32 s2, s[0:1], 0x3c
	s_load_b64 s[4:5], s[0:1], 0x10
	s_load_b128 s[8:11], s[0:1], 0x0
	v_lshlrev_b32_e32 v5, 2, v0
	s_wait_kmcnt 0x0
	s_mul_i32 s3, s7, ttmp9
	s_and_b32 s2, s2, 0xffff
	s_lshr_b32 s12, s3, 31
	s_delay_alu instid0(SALU_CYCLE_1) | instskip(NEXT) | instid1(SALU_CYCLE_1)
	s_add_co_i32 s3, s3, s12
	s_ashr_i32 s3, s3, 1
	s_delay_alu instid0(SALU_CYCLE_1) | instskip(SKIP_3) | instid1(VALU_DEP_3)
	v_add_nc_u32_e32 v3, s3, v0
	v_add_co_u32 v1, s3, s4, v5
	s_wait_alu 0xf1ff
	v_add_co_ci_u32_e64 v2, null, s5, 0, s3
	v_ashrrev_i32_e32 v4, 31, v3
	s_lshl_b32 s3, s2, 2
	s_wait_alu 0xfffe
	v_add_co_u32 v8, vcc_lo, v1, s3
	s_delay_alu instid0(VALU_DEP_2)
	v_lshlrev_b64_e32 v[10:11], 2, v[3:4]
	v_add_co_ci_u32_e64 v9, null, 0, v2, vcc_lo
	s_clause 0x1
	global_load_b32 v4, v5, s[4:5]
	global_load_b32 v18, v[8:9], off
	v_add_co_u32 v1, vcc_lo, s8, v10
	s_wait_alu 0xfffd
	v_add_co_ci_u32_e64 v2, null, s9, v11, vcc_lo
	v_add_co_u32 v10, vcc_lo, s10, v10
	s_wait_alu 0xfffd
	v_add_co_ci_u32_e64 v11, null, s11, v11, vcc_lo
	s_add_nc_u64 s[4:5], s[0:1], 48
	global_load_b32 v19, v[10:11], off
	global_load_b32 v20, v[1:2], off
	s_wait_loadcnt 0x0
	v_and_b32_e32 v21, 0xffff0000, v20
	v_add_nc_u32_e32 v6, s2, v3
	v_lshlrev_b32_e32 v20, 16, v20
	s_delay_alu instid0(VALU_DEP_2) | instskip(NEXT) | instid1(VALU_DEP_1)
	v_ashrrev_i32_e32 v7, 31, v6
	v_lshlrev_b64_e32 v[12:13], 2, v[6:7]
	v_add_co_u32 v7, vcc_lo, v8, s3
	s_wait_alu 0xfffd
	v_add_co_ci_u32_e64 v8, null, 0, v9, vcc_lo
	v_add_nc_u32_e32 v9, s2, v6
	s_delay_alu instid0(VALU_DEP_4)
	v_add_co_u32 v14, vcc_lo, s8, v12
	s_wait_alu 0xfffd
	v_add_co_ci_u32_e64 v15, null, s9, v13, vcc_lo
	v_add_co_u32 v11, vcc_lo, s10, v12
	v_ashrrev_i32_e32 v10, 31, v9
	s_wait_alu 0xfffd
	v_add_co_ci_u32_e64 v12, null, s11, v13, vcc_lo
	v_add_co_u32 v6, vcc_lo, v7, s3
	global_load_b32 v13, v[7:8], off
	s_wait_alu 0xfffd
	v_add_co_ci_u32_e64 v7, null, 0, v8, vcc_lo
	v_add_nc_u32_e32 v8, s2, v9
	v_lshlrev_b64_e32 v[16:17], 2, v[9:10]
	global_load_b32 v12, v[11:12], off
	global_load_b32 v14, v[14:15], off
	;; [unrolled: 1-line block ×3, first 2 shown]
	v_ashrrev_i32_e32 v9, 31, v8
	v_add_co_u32 v6, vcc_lo, s10, v16
	s_wait_alu 0xfffd
	v_add_co_ci_u32_e64 v7, null, s11, v17, vcc_lo
	v_add_co_u32 v10, vcc_lo, s8, v16
	v_lshlrev_b64_e32 v[8:9], 2, v[8:9]
	s_wait_alu 0xfffd
	v_add_co_ci_u32_e64 v11, null, s9, v17, vcc_lo
	global_load_b32 v16, v[6:7], off
	global_load_b32 v10, v[10:11], off
	v_add_co_u32 v6, vcc_lo, s10, v8
	s_wait_alu 0xfffd
	v_add_co_ci_u32_e64 v7, null, s11, v9, vcc_lo
	v_add_co_u32 v8, vcc_lo, s8, v8
	s_wait_alu 0xfffd
	v_add_co_ci_u32_e64 v9, null, s9, v9, vcc_lo
	global_load_b32 v6, v[6:7], off
	global_load_b32 v7, v[8:9], off
	v_lshlrev_b32_e32 v9, 16, v18
	v_and_b32_e32 v11, 0xffff0000, v18
	v_and_b32_e32 v18, 0xffff0000, v19
	v_lshlrev_b32_e32 v19, 16, v19
	s_wait_loadcnt 0x7
	v_lshlrev_b32_e32 v17, 16, v13
	s_delay_alu instid0(VALU_DEP_3)
	v_dual_add_f32 v13, v21, v18 :: v_dual_and_b32 v22, 0xffff0000, v13
	s_wait_loadcnt 0x6
	v_and_b32_e32 v18, 0xffff0000, v12
	v_lshlrev_b32_e32 v12, 16, v12
	s_wait_loadcnt 0x4
	v_lshlrev_b32_e32 v23, 16, v15
	v_and_b32_e32 v24, 0xffff0000, v15
	v_add_f32_e32 v15, v20, v19
	v_and_b32_e32 v19, 0xffff0000, v14
	v_bfe_u32 v20, v13, 16, 1
	v_lshlrev_b32_e32 v14, 16, v14
	v_or_b32_e32 v21, 0x400000, v13
	v_bfe_u32 v25, v15, 16, 1
	v_add_f32_e32 v18, v19, v18
	v_add3_u32 v20, v20, v13, 0x7fff
	v_cmp_u_f32_e32 vcc_lo, v13, v13
	v_lshlrev_b32_e32 v8, 16, v4
	v_or_b32_e32 v26, 0x400000, v15
	v_add_f32_e32 v12, v14, v12
	s_wait_loadcnt 0x3
	v_and_b32_e32 v14, 0xffff0000, v16
	s_wait_loadcnt 0x2
	v_and_b32_e32 v19, 0xffff0000, v10
	v_lshlrev_b32_e32 v16, 16, v16
	v_lshlrev_b32_e32 v10, 16, v10
	v_add3_u32 v25, v25, v15, 0x7fff
	v_bfe_u32 v27, v18, 16, 1
	s_wait_alu 0xfffd
	v_cndmask_b32_e32 v13, v20, v21, vcc_lo
	v_cmp_u_f32_e32 vcc_lo, v15, v15
	v_and_b32_e32 v4, 0xffff0000, v4
	v_or_b32_e32 v28, 0x400000, v18
	v_bfe_u32 v29, v12, 16, 1
	v_add_f32_e32 v14, v19, v14
	v_add_f32_e32 v10, v10, v16
	s_wait_loadcnt 0x1
	v_and_b32_e32 v16, 0xffff0000, v6
	s_wait_loadcnt 0x0
	v_and_b32_e32 v19, 0xffff0000, v7
	v_lshlrev_b32_e32 v6, 16, v6
	v_lshlrev_b32_e32 v7, 16, v7
	s_wait_alu 0xfffd
	v_cndmask_b32_e32 v15, v25, v26, vcc_lo
	v_add3_u32 v20, v27, v18, 0x7fff
	v_cmp_u_f32_e32 vcc_lo, v18, v18
	v_or_b32_e32 v30, 0x400000, v12
	v_add3_u32 v21, v29, v12, 0x7fff
	v_bfe_u32 v25, v14, 16, 1
	v_dual_add_f32 v6, v7, v6 :: v_dual_and_b32 v7, 0xffff0000, v15
	s_wait_alu 0xfffd
	v_cndmask_b32_e32 v15, v20, v28, vcc_lo
	v_cmp_u_f32_e32 vcc_lo, v12, v12
	v_bfe_u32 v27, v10, 16, 1
	v_add3_u32 v18, v25, v14, 0x7fff
	v_bfe_u32 v25, v6, 16, 1
	v_or_b32_e32 v26, 0x400000, v14
	s_wait_alu 0xfffd
	v_cndmask_b32_e32 v12, v21, v30, vcc_lo
	v_add_f32_e32 v16, v19, v16
	v_add3_u32 v19, v27, v10, 0x7fff
	v_or_b32_e32 v27, 0x400000, v6
	v_add_f32_e32 v7, v7, v8
	v_and_b32_e32 v8, 0xffff0000, v12
	v_and_b32_e32 v12, 0xffff0000, v15
	v_cmp_u_f32_e32 vcc_lo, v14, v14
	v_add3_u32 v15, v25, v6, 0x7fff
	v_and_b32_e32 v13, 0xffff0000, v13
	v_or_b32_e32 v29, 0x400000, v10
	v_bfe_u32 v20, v16, 16, 1
	v_or_b32_e32 v21, 0x400000, v16
	v_add_f32_e32 v8, v8, v9
	s_wait_alu 0xfffd
	v_dual_add_f32 v4, v13, v4 :: v_dual_cndmask_b32 v13, v18, v26
	v_cmp_u_f32_e32 vcc_lo, v10, v10
	v_add3_u32 v14, v20, v16, 0x7fff
	v_bfe_u32 v18, v7, 16, 1
	s_delay_alu instid0(VALU_DEP_4)
	v_bfe_u32 v20, v4, 16, 1
	s_wait_alu 0xfffd
	v_dual_add_f32 v9, v12, v11 :: v_dual_cndmask_b32 v10, v19, v29
	v_cmp_u_f32_e32 vcc_lo, v16, v16
	v_or_b32_e32 v19, 0x400000, v7
	v_or_b32_e32 v25, 0x400000, v4
	s_delay_alu instid0(VALU_DEP_4)
	v_or_b32_e32 v16, 0x400000, v9
	v_and_b32_e32 v10, 0xffff0000, v10
	s_wait_alu 0xfffd
	v_cndmask_b32_e32 v12, v14, v21, vcc_lo
	v_cmp_u_f32_e32 vcc_lo, v6, v6
	v_add3_u32 v14, v18, v7, 0x7fff
	v_and_b32_e32 v11, 0xffff0000, v13
	v_add3_u32 v13, v20, v4, 0x7fff
	v_add_f32_e32 v10, v10, v17
	s_wait_alu 0xfffd
	v_cndmask_b32_e32 v6, v15, v27, vcc_lo
	v_cmp_u_f32_e32 vcc_lo, v4, v4
	v_bfe_u32 v15, v8, 16, 1
	v_or_b32_e32 v4, 0x400000, v8
	v_and_b32_e32 v12, 0xffff0000, v12
	s_wait_alu 0xfffd
	v_dual_cndmask_b32 v13, v13, v25 :: v_dual_and_b32 v6, 0xffff0000, v6
	v_cmp_u_f32_e32 vcc_lo, v7, v7
	v_bfe_u32 v7, v9, 16, 1
	v_add3_u32 v15, v15, v8, 0x7fff
	s_delay_alu instid0(VALU_DEP_4)
	v_and_b32_e32 v18, 0xffff0000, v13
	s_wait_alu 0xfffd
	v_cndmask_b32_e32 v14, v14, v19, vcc_lo
	v_cmp_u_f32_e32 vcc_lo, v8, v8
	v_add3_u32 v7, v7, v9, 0x7fff
	v_add_f32_e32 v11, v11, v22
	v_add_f32_e32 v17, 0, v18
	s_wait_alu 0xfffd
	v_cndmask_b32_e32 v15, v15, v4, vcc_lo
	v_cmp_u_f32_e32 vcc_lo, v9, v9
	v_and_b32_e32 v19, 0xffff0000, v14
	v_or_b32_e32 v4, 0x400000, v17
	s_wait_alu 0xfffd
	v_cndmask_b32_e32 v16, v7, v16, vcc_lo
	s_delay_alu instid0(VALU_DEP_3) | instskip(SKIP_1) | instid1(VALU_DEP_2)
	v_add_f32_e32 v18, 0, v19
	v_bfe_u32 v19, v17, 16, 1
	v_bfe_u32 v20, v18, 16, 1
	v_or_b32_e32 v8, 0x400000, v18
	v_cmp_u_f32_e32 vcc_lo, v18, v18
	s_delay_alu instid0(VALU_DEP_4) | instskip(NEXT) | instid1(VALU_DEP_4)
	v_add3_u32 v19, v19, v17, 0x7fff
	v_add3_u32 v20, v20, v18, 0x7fff
	v_or_b32_e32 v18, 0x400000, v10
	s_wait_alu 0xfffd
	s_delay_alu instid0(VALU_DEP_2)
	v_cndmask_b32_e32 v7, v20, v8, vcc_lo
	v_cmp_u_f32_e32 vcc_lo, v17, v17
	v_and_b32_e32 v17, 0xffff0000, v16
	v_bfe_u32 v8, v10, 16, 1
	v_or_b32_e32 v20, 0x400000, v11
	s_wait_alu 0xfffd
	v_cndmask_b32_e32 v4, v19, v4, vcc_lo
	v_cmp_u_f32_e32 vcc_lo, v10, v10
	v_add3_u32 v8, v8, v10, 0x7fff
	v_bfe_u32 v19, v11, 16, 1
	s_delay_alu instid0(VALU_DEP_4) | instskip(NEXT) | instid1(VALU_DEP_1)
	v_and_b32_e32 v4, 0xffff0000, v4
	v_add_f32_e32 v4, v4, v17
	s_wait_alu 0xfffd
	v_cndmask_b32_e32 v17, v8, v18, vcc_lo
	v_cmp_u_f32_e32 vcc_lo, v11, v11
	v_and_b32_e32 v7, 0xffff0000, v7
	v_bfe_u32 v21, v4, 16, 1
	v_or_b32_e32 v10, 0x400000, v4
	s_delay_alu instid0(VALU_DEP_2) | instskip(SKIP_1) | instid1(VALU_DEP_1)
	v_add3_u32 v21, v21, v4, 0x7fff
	v_and_b32_e32 v9, 0xffff0000, v15
	v_add_f32_e32 v7, v7, v9
	v_add3_u32 v9, v19, v11, 0x7fff
	s_delay_alu instid0(VALU_DEP_2) | instskip(SKIP_1) | instid1(VALU_DEP_2)
	v_bfe_u32 v19, v7, 16, 1
	s_wait_alu 0xfffd
	v_cndmask_b32_e32 v18, v9, v20, vcc_lo
	v_cmp_u_f32_e32 vcc_lo, v4, v4
	v_or_b32_e32 v8, 0x400000, v7
	v_add_f32_e32 v6, v6, v23
	v_add3_u32 v19, v19, v7, 0x7fff
	v_and_b32_e32 v9, 0xffff0000, v18
	s_wait_alu 0xfffd
	v_cndmask_b32_e32 v4, v21, v10, vcc_lo
	v_cmp_u_f32_e32 vcc_lo, v7, v7
	v_and_b32_e32 v10, 0xffff0000, v17
	v_bfe_u32 v11, v6, 16, 1
	s_delay_alu instid0(VALU_DEP_4)
	v_and_b32_e32 v4, 0xffff0000, v4
	s_wait_alu 0xfffd
	v_cndmask_b32_e32 v7, v19, v8, vcc_lo
	v_add_f32_e32 v8, v12, v24
	v_or_b32_e32 v12, 0x400000, v6
	v_cmp_u_f32_e32 vcc_lo, v6, v6
	s_delay_alu instid0(VALU_DEP_4) | instskip(NEXT) | instid1(VALU_DEP_4)
	v_dual_add_f32 v4, v4, v9 :: v_dual_and_b32 v7, 0xffff0000, v7
	v_bfe_u32 v19, v8, 16, 1
	v_or_b32_e32 v9, 0x400000, v8
	s_delay_alu instid0(VALU_DEP_3) | instskip(NEXT) | instid1(VALU_DEP_4)
	v_bfe_u32 v20, v4, 16, 1
	v_add_f32_e32 v7, v7, v10
	v_add3_u32 v10, v11, v6, 0x7fff
	v_add3_u32 v11, v19, v8, 0x7fff
	v_or_b32_e32 v6, 0x400000, v4
	s_delay_alu instid0(VALU_DEP_4)
	v_bfe_u32 v21, v7, 16, 1
	s_wait_alu 0xfffd
	v_cndmask_b32_e32 v19, v10, v12, vcc_lo
	v_cmp_u_f32_e32 vcc_lo, v8, v8
	v_add3_u32 v12, v20, v4, 0x7fff
	v_or_b32_e32 v10, 0x400000, v7
	v_add3_u32 v21, v21, v7, 0x7fff
	v_and_b32_e32 v8, 0xffff0000, v19
	s_wait_alu 0xfffd
	v_cndmask_b32_e32 v20, v11, v9, vcc_lo
	v_cmp_u_f32_e32 vcc_lo, v4, v4
	s_wait_alu 0xfffd
	v_cndmask_b32_e32 v4, v12, v6, vcc_lo
	v_cmp_u_f32_e32 vcc_lo, v7, v7
	v_and_b32_e32 v7, 0xffff0000, v20
	s_delay_alu instid0(VALU_DEP_3) | instskip(SKIP_2) | instid1(VALU_DEP_2)
	v_and_b32_e32 v4, 0xffff0000, v4
	s_wait_alu 0xfffd
	v_cndmask_b32_e32 v6, v21, v10, vcc_lo
	v_add_f32_e32 v4, v4, v7
	s_delay_alu instid0(VALU_DEP_2) | instskip(NEXT) | instid1(VALU_DEP_2)
	v_and_b32_e32 v6, 0xffff0000, v6
	v_bfe_u32 v7, v4, 16, 1
	s_delay_alu instid0(VALU_DEP_2) | instskip(SKIP_2) | instid1(VALU_DEP_4)
	v_add_f32_e32 v6, v6, v8
	v_or_b32_e32 v9, 0x400000, v4
	v_cmp_u_f32_e32 vcc_lo, v4, v4
	v_add3_u32 v7, v7, v4, 0x7fff
	s_delay_alu instid0(VALU_DEP_4) | instskip(SKIP_2) | instid1(VALU_DEP_3)
	v_bfe_u32 v8, v6, 16, 1
	v_or_b32_e32 v10, 0x400000, v6
	s_wait_alu 0xfffd
	v_cndmask_b32_e32 v4, v7, v9, vcc_lo
	s_delay_alu instid0(VALU_DEP_3) | instskip(SKIP_1) | instid1(VALU_DEP_3)
	v_add3_u32 v8, v8, v6, 0x7fff
	v_cmp_u_f32_e32 vcc_lo, v6, v6
	v_and_b32_e32 v4, 0xffff0000, v4
	s_wait_alu 0xfffd
	s_delay_alu instid0(VALU_DEP_3) | instskip(SKIP_1) | instid1(VALU_DEP_2)
	v_cndmask_b32_e32 v6, v8, v10, vcc_lo
	v_mbcnt_lo_u32_b32 v10, -1, 0
	v_and_b32_e32 v6, 0xffff0000, v6
	s_delay_alu instid0(VALU_DEP_2) | instskip(SKIP_1) | instid1(VALU_DEP_3)
	v_or_b32_e32 v7, 32, v10
	v_xor_b32_e32 v21, 1, v10
	v_add_f32_e32 v4, v6, v4
	s_delay_alu instid0(VALU_DEP_3) | instskip(NEXT) | instid1(VALU_DEP_2)
	v_cmp_gt_i32_e32 vcc_lo, 64, v7
	v_bfe_u32 v6, v4, 16, 1
	v_or_b32_e32 v8, 0x400000, v4
	s_wait_alu 0xfffd
	v_cndmask_b32_e32 v7, v10, v7, vcc_lo
	v_cmp_u_f32_e32 vcc_lo, v4, v4
	v_add3_u32 v6, v6, v4, 0x7fff
	s_delay_alu instid0(VALU_DEP_3) | instskip(SKIP_1) | instid1(VALU_DEP_2)
	v_lshlrev_b32_e32 v4, 2, v7
	s_wait_alu 0xfffd
	v_cndmask_b32_e32 v6, v6, v8, vcc_lo
	s_delay_alu instid0(VALU_DEP_1)
	v_and_b32_e32 v7, 0xffff0000, v6
	v_xor_b32_e32 v6, 16, v10
	ds_bpermute_b32 v8, v4, v7
	v_cmp_gt_i32_e32 vcc_lo, 64, v6
	s_wait_alu 0xfffd
	v_cndmask_b32_e32 v6, v10, v6, vcc_lo
	s_delay_alu instid0(VALU_DEP_1)
	v_lshlrev_b32_e32 v6, 2, v6
	s_wait_dscnt 0x0
	v_add_f32_e32 v8, v7, v8
	v_xor_b32_e32 v7, 8, v10
	ds_bpermute_b32 v9, v6, v8
	v_cmp_gt_i32_e32 vcc_lo, 64, v7
	s_wait_alu 0xfffd
	v_cndmask_b32_e32 v7, v10, v7, vcc_lo
	s_delay_alu instid0(VALU_DEP_1)
	v_lshlrev_b32_e32 v7, 2, v7
	s_wait_dscnt 0x0
	v_add_f32_e32 v9, v8, v9
	v_xor_b32_e32 v8, 4, v10
	ds_bpermute_b32 v11, v7, v9
	v_cmp_gt_i32_e32 vcc_lo, 64, v8
	s_wait_alu 0xfffd
	v_cndmask_b32_e32 v8, v10, v8, vcc_lo
	s_wait_dscnt 0x0
	s_delay_alu instid0(VALU_DEP_1)
	v_dual_add_f32 v11, v9, v11 :: v_dual_lshlrev_b32 v8, 2, v8
	v_xor_b32_e32 v9, 2, v10
	ds_bpermute_b32 v12, v8, v11
	v_cmp_gt_i32_e32 vcc_lo, 64, v9
	s_wait_alu 0xfffd
	v_cndmask_b32_e32 v9, v10, v9, vcc_lo
	v_cmp_gt_i32_e32 vcc_lo, 64, v21
	s_delay_alu instid0(VALU_DEP_2) | instskip(SKIP_3) | instid1(VALU_DEP_1)
	v_lshlrev_b32_e32 v9, 2, v9
	s_wait_alu 0xfffd
	v_dual_cndmask_b32 v10, v10, v21 :: v_dual_mov_b32 v21, 0
	s_wait_dscnt 0x0
	v_dual_add_f32 v11, v11, v12 :: v_dual_lshlrev_b32 v10, 2, v10
	ds_bpermute_b32 v12, v9, v11
	s_wait_dscnt 0x0
	v_add_f32_e32 v22, v11, v12
	v_and_b32_e32 v12, 63, v0
	v_lshrrev_b32_e32 v11, 4, v0
	ds_bpermute_b32 v23, v10, v22
	v_cmp_eq_u32_e64 s2, 0, v12
	s_and_saveexec_b32 s3, s2
	s_cbranch_execz .LBB16_2
; %bb.1:
	s_wait_dscnt 0x0
	v_add_f32_e32 v22, v22, v23
	ds_store_b32 v11, v22
.LBB16_2:
	s_wait_alu 0xfffe
	s_or_b32 exec_lo, exec_lo, s3
	s_wait_dscnt 0x0
	s_barrier_signal -1
	s_barrier_wait -1
	global_inv scope:SCOPE_SE
	s_load_b32 s5, s[4:5], 0xc
	v_lshlrev_b32_e32 v12, 2, v12
	s_wait_kmcnt 0x0
	s_bfe_u32 s3, s5, 0xa0006
	s_wait_alu 0xfffe
	v_cmp_gt_u32_e64 s3, s3, v0
	s_and_saveexec_b32 s4, s3
; %bb.3:
	ds_load_b32 v21, v12
; %bb.4:
	s_wait_alu 0xfffe
	s_or_b32 exec_lo, exec_lo, s4
	s_wait_dscnt 0x0
	ds_bpermute_b32 v22, v4, v21
	v_perm_b32 v15, v16, v15, 0x7060302
	v_cmp_eq_u32_e64 s4, 0, v0
	s_cvt_f32_i32 s7, s7
	s_wait_dscnt 0x0
	v_add_f32_e32 v21, v21, v22
	ds_bpermute_b32 v22, v6, v21
	s_wait_dscnt 0x0
	v_add_f32_e32 v21, v21, v22
	ds_bpermute_b32 v22, v7, v21
	;; [unrolled: 3-line block ×4, first 2 shown]
	s_wait_dscnt 0x0
	v_add_f32_e32 v22, v21, v22
	v_perm_b32 v21, v13, v14, 0x7060302
	v_perm_b32 v14, v18, v17, 0x7060302
	;; [unrolled: 1-line block ×3, first 2 shown]
	ds_bpermute_b32 v23, v10, v22
	s_and_saveexec_b32 s10, s4
	s_cbranch_execz .LBB16_6
; %bb.5:
	s_wait_dscnt 0x0
	v_add_f32_e32 v0, v22, v23
	s_delay_alu instid0(VALU_DEP_1) | instskip(SKIP_1) | instid1(VALU_DEP_2)
	v_div_scale_f32 v16, null, s7, s7, v0
	v_div_scale_f32 v19, vcc_lo, v0, s7, v0
	v_rcp_f32_e32 v17, v16
	s_delay_alu instid0(TRANS32_DEP_1) | instskip(NEXT) | instid1(VALU_DEP_1)
	v_fma_f32 v18, -v16, v17, 1.0
	v_fmac_f32_e32 v17, v18, v17
	s_delay_alu instid0(VALU_DEP_1) | instskip(NEXT) | instid1(VALU_DEP_1)
	v_mul_f32_e32 v18, v19, v17
	v_fma_f32 v20, -v16, v18, v19
	s_delay_alu instid0(VALU_DEP_1) | instskip(NEXT) | instid1(VALU_DEP_1)
	v_fmac_f32_e32 v18, v20, v17
	v_fma_f32 v16, -v16, v18, v19
	s_wait_alu 0xfffd
	s_delay_alu instid0(VALU_DEP_1) | instskip(NEXT) | instid1(VALU_DEP_1)
	v_div_fmas_f32 v16, v16, v17, v18
	v_div_fixup_f32 v0, v16, s7, v0
	v_mov_b32_e32 v16, 0
	ds_store_b32 v16, v0 offset:68
.LBB16_6:
	s_wait_alu 0xfffe
	s_or_b32 exec_lo, exec_lo, s10
	v_mov_b32_e32 v0, 0
	s_wait_loadcnt_dscnt 0x0
	s_barrier_signal -1
	s_barrier_wait -1
	global_inv scope:SCOPE_SE
	ds_load_b32 v16, v0 offset:68
	s_wait_dscnt 0x0
	v_bfe_u32 v17, v16, 16, 1
	v_or_b32_e32 v18, 0x400000, v16
	v_cmp_u_f32_e32 vcc_lo, v16, v16
	s_delay_alu instid0(VALU_DEP_3) | instskip(NEXT) | instid1(VALU_DEP_1)
	v_add_nc_u32_e32 v17, v17, v16
	v_add_nc_u32_e32 v17, 0x7fff, v17
	s_wait_alu 0xfffd
	s_delay_alu instid0(VALU_DEP_1) | instskip(NEXT) | instid1(VALU_DEP_1)
	v_dual_cndmask_b32 v16, v17, v18 :: v_dual_lshlrev_b32 v17, 16, v21
	v_and_b32_e32 v16, 0xffff0000, v16
	v_and_b32_e32 v18, 0xffff0000, v21
	v_lshlrev_b32_e32 v21, 16, v13
	v_and_b32_e32 v13, 0xffff0000, v13
	s_delay_alu instid0(VALU_DEP_4) | instskip(NEXT) | instid1(VALU_DEP_2)
	v_dual_sub_f32 v17, v17, v16 :: v_dual_lshlrev_b32 v20, 16, v14
	v_sub_f32_e32 v24, v13, v16
	v_and_b32_e32 v14, 0xffff0000, v14
	s_delay_alu instid0(VALU_DEP_3) | instskip(SKIP_1) | instid1(VALU_DEP_4)
	v_bfe_u32 v13, v17, 16, 1
	v_cmp_u_f32_e32 vcc_lo, v17, v17
	v_bfe_u32 v35, v24, 16, 1
	s_delay_alu instid0(VALU_DEP_4)
	v_sub_f32_e32 v23, v14, v16
	v_or_b32_e32 v14, 0x400000, v17
	v_add3_u32 v13, v13, v17, 0x7fff
	v_or_b32_e32 v36, 0x400000, v24
	v_add3_u32 v35, v35, v24, 0x7fff
	s_wait_alu 0xfffd
	s_delay_alu instid0(VALU_DEP_3) | instskip(SKIP_4) | instid1(VALU_DEP_3)
	v_cndmask_b32_e32 v13, v13, v14, vcc_lo
	v_lshlrev_b32_e32 v19, 16, v15
	v_dual_sub_f32 v20, v20, v16 :: v_dual_and_b32 v15, 0xffff0000, v15
	v_sub_f32_e32 v18, v18, v16
	v_sub_f32_e32 v21, v21, v16
	;; [unrolled: 1-line block ×4, first 2 shown]
	s_delay_alu instid0(VALU_DEP_4)
	v_bfe_u32 v15, v18, 16, 1
	v_or_b32_e32 v16, 0x400000, v18
	v_cmp_u_f32_e32 vcc_lo, v18, v18
	v_bfe_u32 v27, v22, 16, 1
	v_bfe_u32 v25, v19, 16, 1
	v_add3_u32 v15, v15, v18, 0x7fff
	v_or_b32_e32 v26, 0x400000, v19
	v_or_b32_e32 v28, 0x400000, v22
	v_bfe_u32 v29, v20, 16, 1
	v_add3_u32 v25, v25, v19, 0x7fff
	s_wait_alu 0xfffd
	v_cndmask_b32_e32 v14, v15, v16, vcc_lo
	v_cmp_u_f32_e32 vcc_lo, v19, v19
	v_add3_u32 v27, v27, v22, 0x7fff
	v_or_b32_e32 v30, 0x400000, v20
	v_add3_u32 v29, v29, v20, 0x7fff
	v_bfe_u32 v33, v21, 16, 1
	s_wait_alu 0xfffd
	v_cndmask_b32_e32 v15, v25, v26, vcc_lo
	v_cmp_u_f32_e32 vcc_lo, v22, v22
	v_or_b32_e32 v34, 0x400000, v21
	v_and_b32_e32 v22, 0xffff0000, v13
	v_add3_u32 v33, v33, v21, 0x7fff
	s_wait_alu 0xfffd
	v_cndmask_b32_e32 v16, v27, v28, vcc_lo
	v_cmp_u_f32_e32 vcc_lo, v20, v20
	v_and_b32_e32 v20, 0xffff0000, v14
	v_bfe_u32 v31, v23, 16, 1
	v_or_b32_e32 v32, 0x400000, v23
	s_delay_alu instid0(VALU_DEP_3) | instskip(NEXT) | instid1(VALU_DEP_3)
	v_mul_f32_e32 v26, v20, v20
	v_add3_u32 v31, v31, v23, 0x7fff
	s_wait_alu 0xfffd
	v_cndmask_b32_e32 v17, v29, v30, vcc_lo
	v_cmp_u_f32_e32 vcc_lo, v23, v23
	v_dual_fmac_f32 v26, v22, v22 :: v_dual_and_b32 v23, 0xffff0000, v15
	s_wait_alu 0xfffd
	v_cndmask_b32_e32 v18, v31, v32, vcc_lo
	v_cmp_u_f32_e32 vcc_lo, v21, v21
	v_and_b32_e32 v21, 0xffff0000, v16
	s_wait_alu 0xfffd
	v_cndmask_b32_e32 v19, v33, v34, vcc_lo
	v_cmp_u_f32_e32 vcc_lo, v24, v24
	s_wait_alu 0xfffd
	v_dual_cndmask_b32 v20, v35, v36 :: v_dual_and_b32 v25, 0xffff0000, v18
	s_delay_alu instid0(VALU_DEP_1) | instskip(NEXT) | instid1(VALU_DEP_1)
	v_dual_mul_f32 v21, v21, v21 :: v_dual_and_b32 v22, 0xffff0000, v20
	v_dual_fmac_f32 v21, v23, v23 :: v_dual_and_b32 v24, 0xffff0000, v17
	s_delay_alu instid0(VALU_DEP_3) | instskip(NEXT) | instid1(VALU_DEP_3)
	v_mul_f32_e32 v25, v25, v25
	v_dual_mul_f32 v22, v22, v22 :: v_dual_and_b32 v23, 0xffff0000, v19
	s_delay_alu instid0(VALU_DEP_3) | instskip(NEXT) | instid1(VALU_DEP_2)
	v_add_f32_e32 v21, v26, v21
	v_dual_fmac_f32 v25, v24, v24 :: v_dual_fmac_f32 v22, v23, v23
	s_delay_alu instid0(VALU_DEP_1) | instskip(NEXT) | instid1(VALU_DEP_1)
	v_add_f32_e32 v21, v21, v25
	v_add_f32_e32 v21, v21, v22
	ds_bpermute_b32 v22, v4, v21
	s_wait_dscnt 0x0
	v_add_f32_e32 v21, v21, v22
	ds_bpermute_b32 v22, v6, v21
	s_wait_dscnt 0x0
	;; [unrolled: 3-line block ×5, first 2 shown]
	v_add_f32_e32 v21, v21, v22
	ds_bpermute_b32 v22, v10, v21
	s_and_saveexec_b32 s10, s2
	s_cbranch_execz .LBB16_8
; %bb.7:
	s_wait_dscnt 0x0
	v_add_f32_e32 v21, v21, v22
	ds_store_b32 v11, v21
.LBB16_8:
	s_wait_alu 0xfffe
	s_or_b32 exec_lo, exec_lo, s10
	s_load_b128 s[12:15], s[0:1], 0x18
	s_wait_loadcnt_dscnt 0x0
	s_barrier_signal -1
	s_barrier_wait -1
	global_inv scope:SCOPE_SE
	s_and_saveexec_b32 s0, s3
; %bb.9:
	ds_load_b32 v0, v12
; %bb.10:
	s_or_b32 exec_lo, exec_lo, s0
	s_wait_dscnt 0x0
	ds_bpermute_b32 v4, v4, v0
	s_wait_dscnt 0x0
	v_add_f32_e32 v0, v0, v4
	ds_bpermute_b32 v4, v6, v0
	v_perm_b32 v6, v16, v15, 0x7060302
	s_wait_dscnt 0x0
	v_add_f32_e32 v0, v0, v4
	ds_bpermute_b32 v4, v7, v0
	v_perm_b32 v7, v14, v13, 0x7060302
	s_wait_dscnt 0x0
	v_add_f32_e32 v0, v0, v4
	ds_bpermute_b32 v4, v8, v0
	s_wait_dscnt 0x0
	v_add_f32_e32 v0, v0, v4
	ds_bpermute_b32 v4, v9, v0
	s_wait_dscnt 0x0
	v_add_f32_e32 v8, v0, v4
	v_perm_b32 v4, v18, v17, 0x7060302
	v_perm_b32 v0, v20, v19, 0x7060302
	ds_bpermute_b32 v9, v10, v8
	s_and_saveexec_b32 s0, s4
	s_cbranch_execz .LBB16_12
; %bb.11:
	s_wait_dscnt 0x0
	v_add_f32_e32 v8, v8, v9
	s_delay_alu instid0(VALU_DEP_1) | instskip(SKIP_1) | instid1(VALU_DEP_2)
	v_div_scale_f32 v9, null, s7, s7, v8
	v_div_scale_f32 v12, vcc_lo, v8, s7, v8
	v_rcp_f32_e32 v10, v9
	s_delay_alu instid0(TRANS32_DEP_1) | instskip(NEXT) | instid1(VALU_DEP_1)
	v_fma_f32 v11, -v9, v10, 1.0
	v_fmac_f32_e32 v10, v11, v10
	s_delay_alu instid0(VALU_DEP_1) | instskip(NEXT) | instid1(VALU_DEP_1)
	v_mul_f32_e32 v11, v12, v10
	v_fma_f32 v13, -v9, v11, v12
	s_delay_alu instid0(VALU_DEP_1) | instskip(NEXT) | instid1(VALU_DEP_1)
	v_fmac_f32_e32 v11, v13, v10
	v_fma_f32 v9, -v9, v11, v12
	s_wait_alu 0xfffd
	s_delay_alu instid0(VALU_DEP_1) | instskip(NEXT) | instid1(VALU_DEP_1)
	v_div_fmas_f32 v9, v9, v10, v11
	v_div_fixup_f32 v8, v9, s7, v8
	s_delay_alu instid0(VALU_DEP_1) | instskip(NEXT) | instid1(VALU_DEP_1)
	v_add_f32_e32 v8, s6, v8
	v_mul_f32_e32 v9, 0x4b800000, v8
	v_cmp_gt_f32_e32 vcc_lo, 0x800000, v8
	s_wait_alu 0xfffd
	s_delay_alu instid0(VALU_DEP_2) | instskip(NEXT) | instid1(VALU_DEP_1)
	v_cndmask_b32_e32 v8, v8, v9, vcc_lo
	v_rsq_f32_e32 v8, v8
	s_delay_alu instid0(TRANS32_DEP_1) | instskip(NEXT) | instid1(VALU_DEP_1)
	v_mul_f32_e32 v9, 0x45800000, v8
	v_dual_cndmask_b32 v8, v8, v9 :: v_dual_mov_b32 v9, 0
	ds_store_b32 v9, v8 offset:64
.LBB16_12:
	s_or_b32 exec_lo, exec_lo, s0
	s_wait_kmcnt 0x0
	v_add_co_u32 v10, s1, s12, v5
	s_delay_alu instid0(VALU_DEP_1)
	v_add_co_ci_u32_e64 v11, null, s13, 0, s1
	v_add_co_u32 v8, s1, s14, v5
	s_and_b32 s0, 0xffff, s5
	s_wait_dscnt 0x0
	v_add_co_ci_u32_e64 v9, null, s15, 0, s1
	s_wait_alu 0xfffe
	s_lshl_b32 s1, s0, 2
	s_wait_loadcnt 0x0
	s_wait_alu 0xfffe
	v_add_co_u32 v8, vcc_lo, v8, s1
	s_wait_alu 0xfffd
	v_add_co_ci_u32_e64 v9, null, 0, v9, vcc_lo
	v_add_co_u32 v10, vcc_lo, v10, s1
	s_wait_alu 0xfffd
	v_add_co_ci_u32_e64 v11, null, 0, v11, vcc_lo
	s_barrier_signal -1
	s_barrier_wait -1
	global_inv scope:SCOPE_SE
	s_clause 0x1
	global_load_b32 v12, v5, s[14:15]
	global_load_b32 v13, v5, s[12:13]
	global_load_b32 v14, v[8:9], off
	global_load_b32 v15, v[10:11], off
	v_add_co_u32 v8, vcc_lo, v8, s1
	s_wait_alu 0xfffd
	v_add_co_ci_u32_e64 v9, null, 0, v9, vcc_lo
	v_add_co_u32 v10, vcc_lo, v10, s1
	s_wait_alu 0xfffd
	v_add_co_ci_u32_e64 v11, null, 0, v11, vcc_lo
	global_load_b32 v16, v[8:9], off
	global_load_b32 v17, v[10:11], off
	v_add_co_u32 v8, vcc_lo, v8, s1
	s_wait_alu 0xfffd
	v_add_co_ci_u32_e64 v9, null, 0, v9, vcc_lo
	v_add_co_u32 v10, vcc_lo, v10, s1
	s_wait_alu 0xfffd
	v_add_co_ci_u32_e64 v11, null, 0, v11, vcc_lo
	global_load_b32 v9, v[8:9], off
	global_load_b32 v10, v[10:11], off
	v_dual_mov_b32 v5, 0 :: v_dual_lshlrev_b32 v18, 16, v7
	v_lshlrev_b32_e32 v20, 16, v6
	v_and_b32_e32 v19, 0xffff0000, v6
	ds_load_b32 v8, v5 offset:64
	s_wait_dscnt 0x0
	v_bfe_u32 v5, v8, 16, 1
	v_or_b32_e32 v24, 0x400000, v8
	v_cmp_u_f32_e32 vcc_lo, v8, v8
	s_delay_alu instid0(VALU_DEP_3) | instskip(NEXT) | instid1(VALU_DEP_1)
	v_add_nc_u32_e32 v6, v5, v8
	v_add_nc_u32_e32 v25, 0x7fff, v6
	s_wait_alu 0xfffd
	s_delay_alu instid0(VALU_DEP_1) | instskip(NEXT) | instid1(VALU_DEP_1)
	v_dual_cndmask_b32 v24, v25, v24 :: v_dual_and_b32 v11, 0xffff0000, v7
	v_and_b32_e32 v24, 0xffff0000, v24
	v_add_nc_u32_e32 v3, s0, v3
	v_lshlrev_b32_e32 v22, 16, v4
	s_delay_alu instid0(VALU_DEP_3) | instskip(NEXT) | instid1(VALU_DEP_3)
	v_dual_mul_f32 v18, v24, v18 :: v_dual_and_b32 v21, 0xffff0000, v4
	v_ashrrev_i32_e32 v4, 31, v3
	v_mul_f32_e32 v11, v24, v11
	v_mul_f32_e32 v20, v24, v20
	;; [unrolled: 1-line block ×3, first 2 shown]
	v_bfe_u32 v26, v18, 16, 1
	v_or_b32_e32 v27, 0x400000, v18
	v_mul_f32_e32 v22, v24, v22
	v_mul_f32_e32 v21, v24, v21
	v_or_b32_e32 v25, 0x400000, v11
	v_add3_u32 v26, v26, v18, 0x7fff
	v_and_b32_e32 v23, 0xffff0000, v0
	v_lshlrev_b32_e32 v0, 16, v0
	v_bfe_u32 v28, v19, 16, 1
	v_or_b32_e32 v29, 0x400000, v19
	v_bfe_u32 v30, v20, 16, 1
	v_mul_f32_e32 v23, v24, v23
	v_dual_mul_f32 v0, v24, v0 :: v_dual_add_nc_u32 v5, s0, v3
	v_lshlrev_b64_e32 v[3:4], 2, v[3:4]
	v_bfe_u32 v24, v11, 16, 1
	v_add3_u32 v28, v28, v19, 0x7fff
	v_or_b32_e32 v31, 0x400000, v20
	v_bfe_u32 v38, v0, 16, 1
	v_or_b32_e32 v39, 0x400000, v0
	v_add_co_u32 v3, vcc_lo, s8, v3
	s_wait_alu 0xfffd
	v_add_co_ci_u32_e64 v4, null, s9, v4, vcc_lo
	v_add3_u32 v24, v24, v11, 0x7fff
	v_cmp_u_f32_e32 vcc_lo, v11, v11
	v_add3_u32 v38, v38, v0, 0x7fff
	v_bfe_u32 v32, v21, 16, 1
	v_add3_u32 v30, v30, v20, 0x7fff
	v_or_b32_e32 v33, 0x400000, v21
	s_wait_alu 0xfffd
	v_cndmask_b32_e32 v11, v24, v25, vcc_lo
	v_cmp_u_f32_e32 vcc_lo, v18, v18
	v_bfe_u32 v34, v22, 16, 1
	v_add3_u32 v32, v32, v21, 0x7fff
	v_or_b32_e32 v35, 0x400000, v22
	v_bfe_u32 v36, v23, 16, 1
	s_wait_alu 0xfffd
	v_cndmask_b32_e32 v18, v26, v27, vcc_lo
	v_cmp_u_f32_e32 vcc_lo, v19, v19
	v_add3_u32 v34, v34, v22, 0x7fff
	v_or_b32_e32 v37, 0x400000, v23
	v_add3_u32 v36, v36, v23, 0x7fff
	s_wait_alu 0xfffd
	v_dual_cndmask_b32 v19, v28, v29 :: v_dual_and_b32 v18, 0xffff0000, v18
	v_cmp_u_f32_e32 vcc_lo, v20, v20
	v_ashrrev_i32_e32 v6, 31, v5
	s_delay_alu instid0(VALU_DEP_3) | instskip(SKIP_4) | instid1(VALU_DEP_2)
	v_and_b32_e32 v19, 0xffff0000, v19
	s_wait_alu 0xfffd
	v_cndmask_b32_e32 v20, v30, v31, vcc_lo
	v_cmp_u_f32_e32 vcc_lo, v21, v21
	s_wait_alu 0xfffd
	v_dual_cndmask_b32 v21, v32, v33 :: v_dual_and_b32 v20, 0xffff0000, v20
	v_cmp_u_f32_e32 vcc_lo, v22, v22
	v_add_nc_u32_e32 v7, s0, v5
	v_lshlrev_b64_e32 v[5:6], 2, v[5:6]
	s_wait_alu 0xfffd
	v_cndmask_b32_e32 v22, v34, v35, vcc_lo
	v_cmp_u_f32_e32 vcc_lo, v23, v23
	v_ashrrev_i32_e32 v8, 31, v7
	s_wait_alu 0xfffd
	s_delay_alu instid0(VALU_DEP_3) | instskip(SKIP_1) | instid1(VALU_DEP_3)
	v_dual_cndmask_b32 v23, v36, v37 :: v_dual_and_b32 v22, 0xffff0000, v22
	v_cmp_u_f32_e32 vcc_lo, v0, v0
	v_lshlrev_b64_e32 v[7:8], 2, v[7:8]
	s_wait_alu 0xfffd
	v_cndmask_b32_e32 v0, v38, v39, vcc_lo
	s_wait_loadcnt 0x4
	v_lshlrev_b32_e32 v26, 16, v15
	v_lshlrev_b32_e32 v24, 16, v12
	v_and_b32_e32 v15, 0xffff0000, v15
	v_lshlrev_b32_e32 v25, 16, v13
	v_and_b32_e32 v11, 0xffff0000, v11
	v_and_b32_e32 v13, 0xffff0000, v13
	s_delay_alu instid0(VALU_DEP_3) | instskip(SKIP_3) | instid1(VALU_DEP_4)
	v_fmac_f32_e32 v24, v18, v25
	v_and_b32_e32 v18, 0xffff0000, v21
	v_lshlrev_b32_e32 v25, 16, v14
	v_and_b32_e32 v14, 0xffff0000, v14
	v_or_b32_e32 v21, 0x400000, v24
	v_cmp_u_f32_e32 vcc_lo, v24, v24
	v_and_b32_e32 v12, 0xffff0000, v12
	s_delay_alu instid0(VALU_DEP_1)
	v_fmac_f32_e32 v12, v11, v13
	s_wait_loadcnt 0x3
	v_dual_fmac_f32 v14, v19, v15 :: v_dual_lshlrev_b32 v15, 16, v16
	s_wait_loadcnt 0x2
	v_lshlrev_b32_e32 v19, 16, v17
	v_and_b32_e32 v16, 0xffff0000, v16
	v_and_b32_e32 v17, 0xffff0000, v17
	v_bfe_u32 v13, v24, 16, 1
	v_or_b32_e32 v27, 0x400000, v12
	v_fmac_f32_e32 v15, v22, v19
	s_delay_alu instid0(VALU_DEP_4)
	v_dual_fmac_f32 v16, v18, v17 :: v_dual_and_b32 v11, 0xffff0000, v23
	s_wait_loadcnt 0x1
	v_lshlrev_b32_e32 v17, 16, v9
	s_wait_loadcnt 0x0
	v_lshlrev_b32_e32 v18, 16, v10
	v_and_b32_e32 v9, 0xffff0000, v9
	v_and_b32_e32 v10, 0xffff0000, v10
	;; [unrolled: 1-line block ×3, first 2 shown]
	v_bfe_u32 v23, v12, 16, 1
	v_add3_u32 v13, v13, v24, 0x7fff
	v_or_b32_e32 v24, 0x400000, v14
	v_fmac_f32_e32 v9, v11, v10
	v_fmac_f32_e32 v17, v0, v18
	v_fmac_f32_e32 v25, v20, v26
	v_add3_u32 v23, v23, v12, 0x7fff
	s_wait_alu 0xfffd
	v_cndmask_b32_e32 v13, v13, v21, vcc_lo
	v_cmp_u_f32_e32 vcc_lo, v12, v12
	v_bfe_u32 v22, v15, 16, 1
	v_bfe_u32 v20, v25, 16, 1
	v_or_b32_e32 v21, 0x400000, v25
	v_bfe_u32 v26, v16, 16, 1
	s_wait_alu 0xfffd
	v_cndmask_b32_e32 v12, v23, v27, vcc_lo
	v_bfe_u32 v23, v14, 16, 1
	v_add3_u32 v19, v20, v25, 0x7fff
	v_cmp_u_f32_e32 vcc_lo, v25, v25
	v_add3_u32 v11, v22, v15, 0x7fff
	v_or_b32_e32 v27, 0x400000, v16
	v_add3_u32 v20, v23, v14, 0x7fff
	v_or_b32_e32 v23, 0x400000, v15
	s_wait_alu 0xfffd
	v_cndmask_b32_e32 v0, v19, v21, vcc_lo
	v_cmp_u_f32_e32 vcc_lo, v14, v14
	v_add3_u32 v14, v26, v16, 0x7fff
	v_bfe_u32 v18, v17, 16, 1
	v_or_b32_e32 v19, 0x400000, v17
	v_or_b32_e32 v21, 0x400000, v9
	s_wait_alu 0xfffd
	v_cndmask_b32_e32 v10, v20, v24, vcc_lo
	v_cmp_u_f32_e32 vcc_lo, v15, v15
	v_bfe_u32 v20, v9, 16, 1
	v_add3_u32 v15, v18, v17, 0x7fff
	v_perm_b32 v12, v12, v13, 0x7060302
	v_perm_b32 v0, v10, v0, 0x7060302
	s_wait_alu 0xfffd
	v_cndmask_b32_e32 v11, v11, v23, vcc_lo
	v_cmp_u_f32_e32 vcc_lo, v16, v16
	v_add3_u32 v18, v20, v9, 0x7fff
	s_wait_alu 0xfffd
	v_cndmask_b32_e32 v14, v14, v27, vcc_lo
	v_cmp_u_f32_e32 vcc_lo, v17, v17
	s_delay_alu instid0(VALU_DEP_2)
	v_perm_b32 v10, v14, v11, 0x7060302
	s_wait_alu 0xfffd
	v_cndmask_b32_e32 v15, v15, v19, vcc_lo
	v_cmp_u_f32_e32 vcc_lo, v9, v9
	s_wait_alu 0xfffd
	v_cndmask_b32_e32 v9, v18, v21, vcc_lo
	v_add_co_u32 v5, vcc_lo, s8, v5
	s_wait_alu 0xfffd
	v_add_co_ci_u32_e64 v6, null, s9, v6, vcc_lo
	v_add_co_u32 v7, vcc_lo, s8, v7
	v_perm_b32 v9, v9, v15, 0x7060302
	s_wait_alu 0xfffd
	v_add_co_ci_u32_e64 v8, null, s9, v8, vcc_lo
	s_clause 0x3
	global_store_b32 v[1:2], v12, off
	global_store_b32 v[3:4], v0, off
	;; [unrolled: 1-line block ×4, first 2 shown]
	s_endpgm
	.section	.rodata,"a",@progbits
	.p2align	6, 0x0
	.amdhsa_kernel _Z30addBiasResidualPostLayerNormV2I14__hip_bfloat16Li64EEvPT_PKS1_S4_S4_S4_fi
		.amdhsa_group_segment_fixed_size 72
		.amdhsa_private_segment_fixed_size 0
		.amdhsa_kernarg_size 304
		.amdhsa_user_sgpr_count 2
		.amdhsa_user_sgpr_dispatch_ptr 0
		.amdhsa_user_sgpr_queue_ptr 0
		.amdhsa_user_sgpr_kernarg_segment_ptr 1
		.amdhsa_user_sgpr_dispatch_id 0
		.amdhsa_user_sgpr_private_segment_size 0
		.amdhsa_wavefront_size32 1
		.amdhsa_uses_dynamic_stack 0
		.amdhsa_enable_private_segment 0
		.amdhsa_system_sgpr_workgroup_id_x 1
		.amdhsa_system_sgpr_workgroup_id_y 0
		.amdhsa_system_sgpr_workgroup_id_z 0
		.amdhsa_system_sgpr_workgroup_info 0
		.amdhsa_system_vgpr_workitem_id 0
		.amdhsa_next_free_vgpr 40
		.amdhsa_next_free_sgpr 16
		.amdhsa_reserve_vcc 1
		.amdhsa_float_round_mode_32 0
		.amdhsa_float_round_mode_16_64 0
		.amdhsa_float_denorm_mode_32 3
		.amdhsa_float_denorm_mode_16_64 3
		.amdhsa_fp16_overflow 0
		.amdhsa_workgroup_processor_mode 1
		.amdhsa_memory_ordered 1
		.amdhsa_forward_progress 1
		.amdhsa_inst_pref_size 43
		.amdhsa_round_robin_scheduling 0
		.amdhsa_exception_fp_ieee_invalid_op 0
		.amdhsa_exception_fp_denorm_src 0
		.amdhsa_exception_fp_ieee_div_zero 0
		.amdhsa_exception_fp_ieee_overflow 0
		.amdhsa_exception_fp_ieee_underflow 0
		.amdhsa_exception_fp_ieee_inexact 0
		.amdhsa_exception_int_div_zero 0
	.end_amdhsa_kernel
	.section	.text._Z30addBiasResidualPostLayerNormV2I14__hip_bfloat16Li64EEvPT_PKS1_S4_S4_S4_fi,"axG",@progbits,_Z30addBiasResidualPostLayerNormV2I14__hip_bfloat16Li64EEvPT_PKS1_S4_S4_S4_fi,comdat
.Lfunc_end16:
	.size	_Z30addBiasResidualPostLayerNormV2I14__hip_bfloat16Li64EEvPT_PKS1_S4_S4_S4_fi, .Lfunc_end16-_Z30addBiasResidualPostLayerNormV2I14__hip_bfloat16Li64EEvPT_PKS1_S4_S4_S4_fi
                                        ; -- End function
	.set _Z30addBiasResidualPostLayerNormV2I14__hip_bfloat16Li64EEvPT_PKS1_S4_S4_S4_fi.num_vgpr, 40
	.set _Z30addBiasResidualPostLayerNormV2I14__hip_bfloat16Li64EEvPT_PKS1_S4_S4_S4_fi.num_agpr, 0
	.set _Z30addBiasResidualPostLayerNormV2I14__hip_bfloat16Li64EEvPT_PKS1_S4_S4_S4_fi.numbered_sgpr, 16
	.set _Z30addBiasResidualPostLayerNormV2I14__hip_bfloat16Li64EEvPT_PKS1_S4_S4_S4_fi.num_named_barrier, 0
	.set _Z30addBiasResidualPostLayerNormV2I14__hip_bfloat16Li64EEvPT_PKS1_S4_S4_S4_fi.private_seg_size, 0
	.set _Z30addBiasResidualPostLayerNormV2I14__hip_bfloat16Li64EEvPT_PKS1_S4_S4_S4_fi.uses_vcc, 1
	.set _Z30addBiasResidualPostLayerNormV2I14__hip_bfloat16Li64EEvPT_PKS1_S4_S4_S4_fi.uses_flat_scratch, 0
	.set _Z30addBiasResidualPostLayerNormV2I14__hip_bfloat16Li64EEvPT_PKS1_S4_S4_S4_fi.has_dyn_sized_stack, 0
	.set _Z30addBiasResidualPostLayerNormV2I14__hip_bfloat16Li64EEvPT_PKS1_S4_S4_S4_fi.has_recursion, 0
	.set _Z30addBiasResidualPostLayerNormV2I14__hip_bfloat16Li64EEvPT_PKS1_S4_S4_S4_fi.has_indirect_call, 0
	.section	.AMDGPU.csdata,"",@progbits
; Kernel info:
; codeLenInByte = 5428
; TotalNumSgprs: 18
; NumVgprs: 40
; ScratchSize: 0
; MemoryBound: 0
; FloatMode: 240
; IeeeMode: 1
; LDSByteSize: 72 bytes/workgroup (compile time only)
; SGPRBlocks: 0
; VGPRBlocks: 4
; NumSGPRsForWavesPerEU: 18
; NumVGPRsForWavesPerEU: 40
; Occupancy: 16
; WaveLimiterHint : 0
; COMPUTE_PGM_RSRC2:SCRATCH_EN: 0
; COMPUTE_PGM_RSRC2:USER_SGPR: 2
; COMPUTE_PGM_RSRC2:TRAP_HANDLER: 0
; COMPUTE_PGM_RSRC2:TGID_X_EN: 1
; COMPUTE_PGM_RSRC2:TGID_Y_EN: 0
; COMPUTE_PGM_RSRC2:TGID_Z_EN: 0
; COMPUTE_PGM_RSRC2:TIDIG_COMP_CNT: 0
	.section	.text._Z30addBiasResidualPostLayerNormV2I14__hip_bfloat16Li32EEvPT_PKS1_S4_S4_S4_fi,"axG",@progbits,_Z30addBiasResidualPostLayerNormV2I14__hip_bfloat16Li32EEvPT_PKS1_S4_S4_S4_fi,comdat
	.protected	_Z30addBiasResidualPostLayerNormV2I14__hip_bfloat16Li32EEvPT_PKS1_S4_S4_S4_fi ; -- Begin function _Z30addBiasResidualPostLayerNormV2I14__hip_bfloat16Li32EEvPT_PKS1_S4_S4_S4_fi
	.globl	_Z30addBiasResidualPostLayerNormV2I14__hip_bfloat16Li32EEvPT_PKS1_S4_S4_S4_fi
	.p2align	8
	.type	_Z30addBiasResidualPostLayerNormV2I14__hip_bfloat16Li32EEvPT_PKS1_S4_S4_S4_fi,@function
_Z30addBiasResidualPostLayerNormV2I14__hip_bfloat16Li32EEvPT_PKS1_S4_S4_S4_fi: ; @_Z30addBiasResidualPostLayerNormV2I14__hip_bfloat16Li32EEvPT_PKS1_S4_S4_S4_fi
; %bb.0:
	s_clause 0x3
	s_load_b64 s[12:13], s[0:1], 0x28
	s_load_b32 s2, s[0:1], 0x3c
	s_load_b64 s[8:9], s[0:1], 0x10
	s_load_b128 s[4:7], s[0:1], 0x0
	v_lshlrev_b32_e32 v9, 2, v0
	s_wait_kmcnt 0x0
	s_mul_i32 s3, s13, ttmp9
	s_and_b32 s2, s2, 0xffff
	s_lshr_b32 s10, s3, 31
	s_lshl_b32 s14, s2, 2
	s_add_co_i32 s3, s3, s10
	s_delay_alu instid0(SALU_CYCLE_1) | instskip(NEXT) | instid1(SALU_CYCLE_1)
	s_ashr_i32 s3, s3, 1
	v_add_nc_u32_e32 v1, s3, v0
	v_add_co_u32 v4, s3, s8, v9
	s_wait_alu 0xf1ff
	v_add_co_ci_u32_e64 v6, null, s9, 0, s3
	s_delay_alu instid0(VALU_DEP_3) | instskip(NEXT) | instid1(VALU_DEP_3)
	v_ashrrev_i32_e32 v2, 31, v1
	v_add_co_u32 v5, vcc_lo, v4, s14
	v_add_nc_u32_e32 v3, s2, v1
	s_delay_alu instid0(VALU_DEP_4) | instskip(NEXT) | instid1(VALU_DEP_4)
	v_add_co_ci_u32_e64 v6, null, 0, v6, vcc_lo
	v_lshlrev_b64_e32 v[7:8], 2, v[1:2]
	s_clause 0x1
	global_load_b32 v14, v9, s[8:9]
	global_load_b32 v15, v[5:6], off
	v_add_co_u32 v1, vcc_lo, s4, v7
	s_wait_alu 0xfffd
	v_add_co_ci_u32_e64 v2, null, s5, v8, vcc_lo
	v_add_co_u32 v7, vcc_lo, s6, v7
	s_wait_alu 0xfffd
	v_add_co_ci_u32_e64 v8, null, s7, v8, vcc_lo
	global_load_b32 v16, v[7:8], off
	global_load_b32 v17, v[1:2], off
	v_add_co_u32 v5, vcc_lo, v5, s14
	s_wait_alu 0xfffd
	v_add_co_ci_u32_e64 v6, null, 0, v6, vcc_lo
	global_load_b32 v18, v[5:6], off
	s_wait_loadcnt 0x2
	v_and_b32_e32 v25, 0xffff0000, v16
	s_wait_loadcnt 0x1
	v_and_b32_e32 v26, 0xffff0000, v17
	v_lshlrev_b32_e32 v16, 16, v16
	v_lshlrev_b32_e32 v17, 16, v17
	s_delay_alu instid0(VALU_DEP_1)
	v_add_f32_e32 v16, v17, v16
	v_ashrrev_i32_e32 v4, 31, v3
	v_add_nc_u32_e32 v12, s2, v3
	s_wait_loadcnt 0x0
	v_and_b32_e32 v27, 0xffff0000, v18
	v_bfe_u32 v30, v16, 16, 1
	v_lshlrev_b64_e32 v[10:11], 2, v[3:4]
	v_or_b32_e32 v31, 0x400000, v16
	s_delay_alu instid0(VALU_DEP_3) | instskip(NEXT) | instid1(VALU_DEP_3)
	v_add3_u32 v30, v30, v16, 0x7fff
	v_add_co_u32 v3, vcc_lo, s4, v10
	s_wait_alu 0xfffd
	s_delay_alu instid0(VALU_DEP_4)
	v_add_co_ci_u32_e64 v4, null, s5, v11, vcc_lo
	v_add_co_u32 v7, vcc_lo, s6, v10
	s_wait_alu 0xfffd
	v_add_co_ci_u32_e64 v8, null, s7, v11, vcc_lo
	v_add_co_u32 v5, vcc_lo, v5, s14
	s_wait_alu 0xfffd
	v_add_co_ci_u32_e64 v6, null, 0, v6, vcc_lo
	global_load_b32 v19, v[7:8], off
	global_load_b32 v20, v[3:4], off
	;; [unrolled: 1-line block ×3, first 2 shown]
	s_wait_loadcnt 0x2
	v_and_b32_e32 v17, 0xffff0000, v19
	v_lshlrev_b32_e32 v19, 16, v19
	s_wait_loadcnt 0x0
	v_lshlrev_b32_e32 v28, 16, v21
	v_and_b32_e32 v29, 0xffff0000, v21
	v_and_b32_e32 v21, 0xffff0000, v20
	v_lshlrev_b32_e32 v20, 16, v20
	s_delay_alu instid0(VALU_DEP_2) | instskip(SKIP_2) | instid1(VALU_DEP_4)
	v_dual_add_f32 v17, v21, v17 :: v_dual_lshlrev_b32 v22, 16, v14
	v_ashrrev_i32_e32 v13, 31, v12
	v_add_nc_u32_e32 v7, s2, v12
	v_add_f32_e32 v19, v20, v19
	s_delay_alu instid0(VALU_DEP_4) | instskip(NEXT) | instid1(VALU_DEP_4)
	v_or_b32_e32 v33, 0x400000, v17
	v_lshlrev_b64_e32 v[10:11], 2, v[12:13]
	s_delay_alu instid0(VALU_DEP_4)
	v_ashrrev_i32_e32 v8, 31, v7
	v_lshlrev_b32_e32 v24, 16, v18
	v_bfe_u32 v32, v17, 16, 1
	v_bfe_u32 v34, v19, 16, 1
	v_or_b32_e32 v35, 0x400000, v19
	v_lshlrev_b64_e32 v[7:8], 2, v[7:8]
	v_add_co_u32 v12, vcc_lo, s6, v10
	s_wait_alu 0xfffd
	v_add_co_ci_u32_e64 v13, null, s7, v11, vcc_lo
	v_add_co_u32 v5, vcc_lo, s4, v10
	s_wait_alu 0xfffd
	v_add_co_ci_u32_e64 v6, null, s5, v11, vcc_lo
	;; [unrolled: 3-line block ×3, first 2 shown]
	v_add_co_u32 v7, vcc_lo, s4, v7
	global_load_b32 v12, v[12:13], off
	global_load_b32 v13, v[5:6], off
	s_wait_alu 0xfffd
	v_add_co_ci_u32_e64 v8, null, s5, v8, vcc_lo
	global_load_b32 v10, v[10:11], off
	global_load_b32 v11, v[7:8], off
	s_wait_loadcnt 0x3
	v_and_b32_e32 v20, 0xffff0000, v12
	s_wait_loadcnt 0x2
	v_and_b32_e32 v21, 0xffff0000, v13
	v_lshlrev_b32_e32 v12, 16, v12
	v_lshlrev_b32_e32 v13, 16, v13
	;; [unrolled: 1-line block ×3, first 2 shown]
	s_delay_alu instid0(VALU_DEP_4) | instskip(SKIP_1) | instid1(VALU_DEP_3)
	v_dual_add_f32 v20, v21, v20 :: v_dual_and_b32 v15, 0xffff0000, v15
	s_wait_loadcnt 0x0
	v_dual_add_f32 v12, v13, v12 :: v_dual_and_b32 v21, 0xffff0000, v11
	v_and_b32_e32 v13, 0xffff0000, v10
	v_lshlrev_b32_e32 v10, 16, v10
	v_lshlrev_b32_e32 v11, 16, v11
	s_delay_alu instid0(VALU_DEP_3) | instskip(NEXT) | instid1(VALU_DEP_2)
	v_dual_add_f32 v13, v21, v13 :: v_dual_and_b32 v14, 0xffff0000, v14
	v_add_f32_e32 v10, v11, v10
	v_add_f32_e32 v18, v26, v25
	s_delay_alu instid0(VALU_DEP_1) | instskip(SKIP_2) | instid1(VALU_DEP_3)
	v_bfe_u32 v25, v18, 16, 1
	v_or_b32_e32 v26, 0x400000, v18
	v_cmp_u_f32_e32 vcc_lo, v18, v18
	v_add3_u32 v25, v25, v18, 0x7fff
	s_wait_alu 0xfffd
	s_delay_alu instid0(VALU_DEP_1)
	v_cndmask_b32_e32 v18, v25, v26, vcc_lo
	v_cmp_u_f32_e32 vcc_lo, v16, v16
	v_add3_u32 v25, v32, v17, 0x7fff
	v_add3_u32 v26, v34, v19, 0x7fff
	v_bfe_u32 v32, v12, 16, 1
	v_or_b32_e32 v34, 0x400000, v12
	s_wait_alu 0xfffd
	v_cndmask_b32_e32 v16, v30, v31, vcc_lo
	v_cmp_u_f32_e32 vcc_lo, v17, v17
	v_bfe_u32 v30, v20, 16, 1
	v_or_b32_e32 v31, 0x400000, v20
	v_add3_u32 v21, v32, v12, 0x7fff
	v_and_b32_e32 v11, 0xffff0000, v16
	s_wait_alu 0xfffd
	v_cndmask_b32_e32 v17, v25, v33, vcc_lo
	v_cmp_u_f32_e32 vcc_lo, v19, v19
	v_and_b32_e32 v16, 0xffff0000, v18
	v_add3_u32 v19, v30, v20, 0x7fff
	v_bfe_u32 v25, v13, 16, 1
	v_bfe_u32 v30, v10, 16, 1
	s_wait_alu 0xfffd
	v_cndmask_b32_e32 v18, v26, v35, vcc_lo
	v_cmp_u_f32_e32 vcc_lo, v20, v20
	v_add_f32_e32 v14, v16, v14
	v_or_b32_e32 v26, 0x400000, v13
	v_or_b32_e32 v32, 0x400000, v10
	v_and_b32_e32 v16, 0xffff0000, v18
	s_wait_alu 0xfffd
	v_cndmask_b32_e32 v18, v19, v31, vcc_lo
	v_cmp_u_f32_e32 vcc_lo, v12, v12
	v_add3_u32 v19, v25, v13, 0x7fff
	v_add_f32_e32 v11, v11, v22
	v_and_b32_e32 v17, 0xffff0000, v17
	v_add3_u32 v20, v30, v10, 0x7fff
	s_wait_alu 0xfffd
	v_cndmask_b32_e32 v12, v21, v34, vcc_lo
	v_cmp_u_f32_e32 vcc_lo, v13, v13
	v_bfe_u32 v25, v14, 16, 1
	v_bfe_u32 v21, v11, 16, 1
	v_or_b32_e32 v30, 0x400000, v14
	v_add_f32_e32 v15, v17, v15
	s_wait_alu 0xfffd
	v_cndmask_b32_e32 v13, v19, v26, vcc_lo
	v_cmp_u_f32_e32 vcc_lo, v10, v10
	v_add3_u32 v17, v25, v14, 0x7fff
	v_or_b32_e32 v22, 0x400000, v11
	s_delay_alu instid0(VALU_DEP_4)
	v_dual_add_f32 v16, v16, v23 :: v_dual_and_b32 v13, 0xffff0000, v13
	s_wait_alu 0xfffd
	v_cndmask_b32_e32 v10, v20, v32, vcc_lo
	v_cmp_u_f32_e32 vcc_lo, v14, v14
	v_bfe_u32 v14, v15, 16, 1
	v_bfe_u32 v19, v16, 16, 1
	s_delay_alu instid0(VALU_DEP_4)
	v_dual_add_f32 v13, v13, v29 :: v_dual_and_b32 v10, 0xffff0000, v10
	v_and_b32_e32 v23, 0xffff0000, v18
	v_add3_u32 v18, v21, v11, 0x7fff
	s_wait_alu 0xfffd
	v_cndmask_b32_e32 v17, v17, v30, vcc_lo
	v_cmp_u_f32_e32 vcc_lo, v11, v11
	v_or_b32_e32 v11, 0x400000, v16
	v_add3_u32 v19, v19, v16, 0x7fff
	v_and_b32_e32 v12, 0xffff0000, v12
	s_wait_alu 0xfffd
	v_dual_cndmask_b32 v18, v18, v22 :: v_dual_and_b32 v21, 0xffff0000, v17
	v_cmp_u_f32_e32 vcc_lo, v16, v16
	v_or_b32_e32 v20, 0x400000, v15
	v_add3_u32 v14, v14, v15, 0x7fff
	s_delay_alu instid0(VALU_DEP_4)
	v_dual_add_f32 v21, 0, v21 :: v_dual_and_b32 v22, 0xffff0000, v18
	s_wait_alu 0xfffd
	v_cndmask_b32_e32 v19, v19, v11, vcc_lo
	v_cmp_u_f32_e32 vcc_lo, v15, v15
	v_add_f32_e32 v12, v12, v24
	v_bfe_u32 v24, v21, 16, 1
	v_add_f32_e32 v22, 0, v22
	v_or_b32_e32 v11, 0x400000, v21
	s_wait_alu 0xfffd
	v_cndmask_b32_e32 v20, v14, v20, vcc_lo
	v_bfe_u32 v15, v12, 16, 1
	v_add3_u32 v24, v24, v21, 0x7fff
	v_bfe_u32 v25, v22, 16, 1
	v_or_b32_e32 v16, 0x400000, v22
	v_cmp_u_f32_e32 vcc_lo, v22, v22
	v_dual_add_f32 v10, v10, v28 :: v_dual_add_f32 v23, v23, v27
	s_delay_alu instid0(VALU_DEP_4) | instskip(SKIP_3) | instid1(VALU_DEP_3)
	v_add3_u32 v25, v25, v22, 0x7fff
	v_or_b32_e32 v22, 0x400000, v12
	v_add3_u32 v15, v15, v12, 0x7fff
	s_wait_alu 0xfffd
	v_cndmask_b32_e32 v14, v25, v16, vcc_lo
	v_cmp_u_f32_e32 vcc_lo, v21, v21
	v_and_b32_e32 v21, 0xffff0000, v20
	v_and_b32_e32 v16, 0xffff0000, v19
	v_or_b32_e32 v25, 0x400000, v23
	s_wait_alu 0xfffd
	v_dual_cndmask_b32 v11, v24, v11 :: v_dual_and_b32 v14, 0xffff0000, v14
	v_bfe_u32 v24, v23, 16, 1
	v_cmp_u_f32_e32 vcc_lo, v12, v12
	s_delay_alu instid0(VALU_DEP_3) | instskip(NEXT) | instid1(VALU_DEP_3)
	v_dual_add_f32 v14, v14, v16 :: v_dual_and_b32 v11, 0xffff0000, v11
	v_add3_u32 v16, v24, v23, 0x7fff
	s_delay_alu instid0(VALU_DEP_2) | instskip(NEXT) | instid1(VALU_DEP_3)
	v_bfe_u32 v24, v14, 16, 1
	v_add_f32_e32 v11, v11, v21
	s_wait_alu 0xfffd
	v_cndmask_b32_e32 v21, v15, v22, vcc_lo
	v_cmp_u_f32_e32 vcc_lo, v23, v23
	v_or_b32_e32 v12, 0x400000, v14
	v_add3_u32 v24, v24, v14, 0x7fff
	v_bfe_u32 v26, v11, 16, 1
	v_or_b32_e32 v15, 0x400000, v11
	s_wait_alu 0xfffd
	v_cndmask_b32_e32 v22, v16, v25, vcc_lo
	v_cmp_u_f32_e32 vcc_lo, v11, v11
	v_bfe_u32 v16, v10, 16, 1
	v_add3_u32 v26, v26, v11, 0x7fff
	v_or_b32_e32 v23, 0x400000, v10
	s_wait_alu 0xfffd
	s_delay_alu instid0(VALU_DEP_2) | instskip(SKIP_3) | instid1(VALU_DEP_3)
	v_cndmask_b32_e32 v11, v26, v15, vcc_lo
	v_cmp_u_f32_e32 vcc_lo, v14, v14
	v_and_b32_e32 v15, 0xffff0000, v21
	s_wait_alu 0xfffd
	v_dual_cndmask_b32 v12, v24, v12 :: v_dual_and_b32 v11, 0xffff0000, v11
	v_cmp_u_f32_e32 vcc_lo, v10, v10
	v_bfe_u32 v24, v13, 16, 1
	s_delay_alu instid0(VALU_DEP_3) | instskip(NEXT) | instid1(VALU_DEP_1)
	v_and_b32_e32 v12, 0xffff0000, v12
	v_add_f32_e32 v12, v12, v15
	v_add3_u32 v15, v16, v10, 0x7fff
	s_delay_alu instid0(VALU_DEP_4) | instskip(NEXT) | instid1(VALU_DEP_3)
	v_add3_u32 v16, v24, v13, 0x7fff
	v_bfe_u32 v25, v12, 16, 1
	s_wait_alu 0xfffd
	s_delay_alu instid0(VALU_DEP_3) | instskip(SKIP_4) | instid1(VALU_DEP_1)
	v_cndmask_b32_e32 v23, v15, v23, vcc_lo
	v_or_b32_e32 v15, 0x400000, v12
	v_cmp_u_f32_e32 vcc_lo, v13, v13
	v_add3_u32 v25, v25, v12, 0x7fff
	v_and_b32_e32 v14, 0xffff0000, v22
	v_add_f32_e32 v11, v11, v14
	v_or_b32_e32 v14, 0x400000, v13
	v_and_b32_e32 v13, 0xffff0000, v23
	s_delay_alu instid0(VALU_DEP_3) | instskip(SKIP_1) | instid1(VALU_DEP_2)
	v_bfe_u32 v24, v11, 16, 1
	v_or_b32_e32 v10, 0x400000, v11
	v_add3_u32 v26, v24, v11, 0x7fff
	s_wait_alu 0xfffd
	v_cndmask_b32_e32 v24, v16, v14, vcc_lo
	v_cmp_u_f32_e32 vcc_lo, v11, v11
	s_wait_alu 0xfffd
	v_cndmask_b32_e32 v10, v26, v10, vcc_lo
	v_cmp_u_f32_e32 vcc_lo, v12, v12
	s_wait_alu 0xfffd
	s_delay_alu instid0(VALU_DEP_2) | instskip(NEXT) | instid1(VALU_DEP_1)
	v_dual_cndmask_b32 v11, v25, v15 :: v_dual_and_b32 v10, 0xffff0000, v10
	v_and_b32_e32 v11, 0xffff0000, v11
	s_delay_alu instid0(VALU_DEP_1) | instskip(NEXT) | instid1(VALU_DEP_1)
	v_add_f32_e32 v11, v11, v13
	v_bfe_u32 v13, v11, 16, 1
	v_or_b32_e32 v15, 0x400000, v11
	s_delay_alu instid0(VALU_DEP_2) | instskip(SKIP_1) | instid1(VALU_DEP_1)
	v_add3_u32 v13, v13, v11, 0x7fff
	v_and_b32_e32 v12, 0xffff0000, v24
	v_add_f32_e32 v10, v10, v12
	s_delay_alu instid0(VALU_DEP_1) | instskip(SKIP_2) | instid1(VALU_DEP_3)
	v_bfe_u32 v12, v10, 16, 1
	v_or_b32_e32 v14, 0x400000, v10
	v_cmp_u_f32_e32 vcc_lo, v10, v10
	v_add3_u32 v12, v12, v10, 0x7fff
	s_wait_alu 0xfffd
	s_delay_alu instid0(VALU_DEP_1) | instskip(SKIP_3) | instid1(VALU_DEP_3)
	v_cndmask_b32_e32 v10, v12, v14, vcc_lo
	v_cmp_u_f32_e32 vcc_lo, v11, v11
	v_mbcnt_lo_u32_b32 v14, -1, 0
	s_wait_alu 0xfffd
	v_dual_cndmask_b32 v11, v13, v15 :: v_dual_and_b32 v10, 0xffff0000, v10
	s_delay_alu instid0(VALU_DEP_2) | instskip(SKIP_1) | instid1(VALU_DEP_3)
	v_xor_b32_e32 v12, 16, v14
	v_xor_b32_e32 v25, 1, v14
	v_and_b32_e32 v11, 0xffff0000, v11
	s_delay_alu instid0(VALU_DEP_3) | instskip(NEXT) | instid1(VALU_DEP_2)
	v_cmp_gt_i32_e32 vcc_lo, 32, v12
	v_add_f32_e32 v10, v11, v10
	s_wait_alu 0xfffd
	v_cndmask_b32_e32 v12, v14, v12, vcc_lo
	s_delay_alu instid0(VALU_DEP_2) | instskip(SKIP_2) | instid1(VALU_DEP_3)
	v_bfe_u32 v11, v10, 16, 1
	v_or_b32_e32 v13, 0x400000, v10
	v_cmp_u_f32_e32 vcc_lo, v10, v10
	v_add3_u32 v11, v11, v10, 0x7fff
	s_wait_alu 0xfffd
	s_delay_alu instid0(VALU_DEP_1) | instskip(NEXT) | instid1(VALU_DEP_1)
	v_dual_cndmask_b32 v11, v11, v13 :: v_dual_lshlrev_b32 v10, 2, v12
	v_and_b32_e32 v12, 0xffff0000, v11
	v_xor_b32_e32 v11, 8, v14
	ds_bpermute_b32 v13, v10, v12
	v_cmp_gt_i32_e32 vcc_lo, 32, v11
	s_wait_alu 0xfffd
	v_cndmask_b32_e32 v11, v14, v11, vcc_lo
	s_delay_alu instid0(VALU_DEP_1)
	v_lshlrev_b32_e32 v11, 2, v11
	s_wait_dscnt 0x0
	v_add_f32_e32 v13, v12, v13
	v_xor_b32_e32 v12, 4, v14
	ds_bpermute_b32 v15, v11, v13
	v_cmp_gt_i32_e32 vcc_lo, 32, v12
	s_wait_alu 0xfffd
	v_cndmask_b32_e32 v12, v14, v12, vcc_lo
	s_wait_dscnt 0x0
	s_delay_alu instid0(VALU_DEP_1)
	v_dual_add_f32 v15, v13, v15 :: v_dual_lshlrev_b32 v12, 2, v12
	v_xor_b32_e32 v13, 2, v14
	ds_bpermute_b32 v16, v12, v15
	v_cmp_gt_i32_e32 vcc_lo, 32, v13
	s_wait_alu 0xfffd
	v_cndmask_b32_e32 v13, v14, v13, vcc_lo
	v_cmp_gt_i32_e32 vcc_lo, 32, v25
	s_wait_alu 0xfffd
	v_dual_cndmask_b32 v14, v14, v25 :: v_dual_mov_b32 v25, 0
	s_wait_dscnt 0x0
	s_delay_alu instid0(VALU_DEP_1)
	v_dual_add_f32 v15, v15, v16 :: v_dual_lshlrev_b32 v14, 2, v14
	v_lshlrev_b32_e32 v13, 2, v13
	ds_bpermute_b32 v16, v13, v15
	s_wait_dscnt 0x0
	v_add_f32_e32 v26, v15, v16
	v_and_b32_e32 v15, 31, v0
	v_lshrrev_b32_e32 v16, 3, v0
	ds_bpermute_b32 v27, v14, v26
	v_cmp_eq_u32_e64 s3, 0, v15
	s_and_saveexec_b32 s4, s3
	s_cbranch_execz .LBB17_2
; %bb.1:
	s_wait_dscnt 0x0
	v_add_f32_e32 v26, v26, v27
	ds_store_b32 v16, v26
.LBB17_2:
	s_wait_alu 0xfffe
	s_or_b32 exec_lo, exec_lo, s4
	s_lshr_b32 s2, s2, 5
	v_lshlrev_b32_e32 v15, 2, v15
	s_wait_alu 0xfffe
	v_cmp_gt_u32_e64 s2, s2, v0
	s_wait_dscnt 0x0
	s_barrier_signal -1
	s_barrier_wait -1
	global_inv scope:SCOPE_SE
	s_and_saveexec_b32 s4, s2
; %bb.3:
	ds_load_b32 v25, v15
; %bb.4:
	s_wait_alu 0xfffe
	s_or_b32 exec_lo, exec_lo, s4
	s_wait_dscnt 0x0
	ds_bpermute_b32 v26, v10, v25
	v_perm_b32 v19, v20, v19, 0x7060302
	v_cmp_eq_u32_e64 s4, 0, v0
	s_cvt_f32_i32 s5, s13
	s_wait_dscnt 0x0
	v_add_f32_e32 v25, v25, v26
	ds_bpermute_b32 v26, v11, v25
	s_wait_dscnt 0x0
	v_add_f32_e32 v25, v25, v26
	ds_bpermute_b32 v26, v12, v25
	;; [unrolled: 3-line block ×3, first 2 shown]
	s_wait_dscnt 0x0
	v_add_f32_e32 v26, v25, v26
	v_perm_b32 v25, v17, v18, 0x7060302
	v_perm_b32 v18, v22, v21, 0x7060302
	;; [unrolled: 1-line block ×3, first 2 shown]
	ds_bpermute_b32 v27, v14, v26
	s_and_saveexec_b32 s6, s4
	s_cbranch_execz .LBB17_6
; %bb.5:
	s_wait_dscnt 0x0
	v_add_f32_e32 v0, v26, v27
	s_wait_alu 0xfffe
	s_delay_alu instid0(VALU_DEP_1) | instskip(SKIP_1) | instid1(VALU_DEP_2)
	v_div_scale_f32 v20, null, s5, s5, v0
	v_div_scale_f32 v23, vcc_lo, v0, s5, v0
	v_rcp_f32_e32 v21, v20
	s_delay_alu instid0(TRANS32_DEP_1) | instskip(NEXT) | instid1(VALU_DEP_1)
	v_fma_f32 v22, -v20, v21, 1.0
	v_fmac_f32_e32 v21, v22, v21
	s_delay_alu instid0(VALU_DEP_1) | instskip(NEXT) | instid1(VALU_DEP_1)
	v_mul_f32_e32 v22, v23, v21
	v_fma_f32 v24, -v20, v22, v23
	s_delay_alu instid0(VALU_DEP_1) | instskip(NEXT) | instid1(VALU_DEP_1)
	v_fmac_f32_e32 v22, v24, v21
	v_fma_f32 v20, -v20, v22, v23
	s_wait_alu 0xfffd
	s_delay_alu instid0(VALU_DEP_1) | instskip(NEXT) | instid1(VALU_DEP_1)
	v_div_fmas_f32 v20, v20, v21, v22
	v_div_fixup_f32 v0, v20, s5, v0
	v_mov_b32_e32 v20, 0
	ds_store_b32 v20, v0 offset:132
.LBB17_6:
	s_wait_alu 0xfffe
	s_or_b32 exec_lo, exec_lo, s6
	v_mov_b32_e32 v0, 0
	s_wait_loadcnt_dscnt 0x0
	s_barrier_signal -1
	s_barrier_wait -1
	global_inv scope:SCOPE_SE
	ds_load_b32 v20, v0 offset:132
	s_wait_dscnt 0x0
	v_bfe_u32 v21, v20, 16, 1
	v_or_b32_e32 v22, 0x400000, v20
	v_cmp_u_f32_e32 vcc_lo, v20, v20
	s_delay_alu instid0(VALU_DEP_3) | instskip(NEXT) | instid1(VALU_DEP_1)
	v_add_nc_u32_e32 v21, v21, v20
	v_add_nc_u32_e32 v21, 0x7fff, v21
	s_wait_alu 0xfffd
	s_delay_alu instid0(VALU_DEP_1) | instskip(NEXT) | instid1(VALU_DEP_1)
	v_dual_cndmask_b32 v20, v21, v22 :: v_dual_lshlrev_b32 v21, 16, v25
	v_and_b32_e32 v20, 0xffff0000, v20
	v_and_b32_e32 v22, 0xffff0000, v25
	v_lshlrev_b32_e32 v25, 16, v17
	v_and_b32_e32 v17, 0xffff0000, v17
	s_delay_alu instid0(VALU_DEP_4) | instskip(NEXT) | instid1(VALU_DEP_2)
	v_dual_sub_f32 v21, v21, v20 :: v_dual_lshlrev_b32 v24, 16, v18
	v_sub_f32_e32 v28, v17, v20
	v_and_b32_e32 v18, 0xffff0000, v18
	s_delay_alu instid0(VALU_DEP_3) | instskip(SKIP_1) | instid1(VALU_DEP_4)
	v_bfe_u32 v17, v21, 16, 1
	v_cmp_u_f32_e32 vcc_lo, v21, v21
	v_bfe_u32 v39, v28, 16, 1
	s_delay_alu instid0(VALU_DEP_4)
	v_sub_f32_e32 v27, v18, v20
	v_or_b32_e32 v18, 0x400000, v21
	v_add3_u32 v17, v17, v21, 0x7fff
	v_or_b32_e32 v40, 0x400000, v28
	v_add3_u32 v39, v39, v28, 0x7fff
	s_wait_alu 0xfffd
	s_delay_alu instid0(VALU_DEP_3) | instskip(SKIP_4) | instid1(VALU_DEP_3)
	v_cndmask_b32_e32 v17, v17, v18, vcc_lo
	v_lshlrev_b32_e32 v23, 16, v19
	v_dual_sub_f32 v24, v24, v20 :: v_dual_and_b32 v19, 0xffff0000, v19
	v_sub_f32_e32 v22, v22, v20
	v_sub_f32_e32 v25, v25, v20
	v_sub_f32_e32 v26, v19, v20
	v_sub_f32_e32 v23, v23, v20
	s_delay_alu instid0(VALU_DEP_4)
	v_bfe_u32 v19, v22, 16, 1
	v_or_b32_e32 v20, 0x400000, v22
	v_cmp_u_f32_e32 vcc_lo, v22, v22
	v_bfe_u32 v31, v26, 16, 1
	v_bfe_u32 v29, v23, 16, 1
	v_add3_u32 v19, v19, v22, 0x7fff
	v_or_b32_e32 v30, 0x400000, v23
	v_or_b32_e32 v32, 0x400000, v26
	v_bfe_u32 v33, v24, 16, 1
	v_add3_u32 v29, v29, v23, 0x7fff
	s_wait_alu 0xfffd
	v_cndmask_b32_e32 v18, v19, v20, vcc_lo
	v_cmp_u_f32_e32 vcc_lo, v23, v23
	v_add3_u32 v31, v31, v26, 0x7fff
	v_or_b32_e32 v34, 0x400000, v24
	v_add3_u32 v33, v33, v24, 0x7fff
	v_bfe_u32 v37, v25, 16, 1
	s_wait_alu 0xfffd
	v_cndmask_b32_e32 v19, v29, v30, vcc_lo
	v_cmp_u_f32_e32 vcc_lo, v26, v26
	v_or_b32_e32 v38, 0x400000, v25
	v_and_b32_e32 v26, 0xffff0000, v17
	v_add3_u32 v37, v37, v25, 0x7fff
	s_wait_alu 0xfffd
	v_cndmask_b32_e32 v20, v31, v32, vcc_lo
	v_cmp_u_f32_e32 vcc_lo, v24, v24
	v_and_b32_e32 v24, 0xffff0000, v18
	v_bfe_u32 v35, v27, 16, 1
	v_or_b32_e32 v36, 0x400000, v27
	s_delay_alu instid0(VALU_DEP_3) | instskip(NEXT) | instid1(VALU_DEP_3)
	v_mul_f32_e32 v30, v24, v24
	v_add3_u32 v35, v35, v27, 0x7fff
	s_wait_alu 0xfffd
	v_cndmask_b32_e32 v21, v33, v34, vcc_lo
	v_cmp_u_f32_e32 vcc_lo, v27, v27
	v_dual_fmac_f32 v30, v26, v26 :: v_dual_and_b32 v27, 0xffff0000, v19
	s_wait_alu 0xfffd
	v_cndmask_b32_e32 v22, v35, v36, vcc_lo
	v_cmp_u_f32_e32 vcc_lo, v25, v25
	v_and_b32_e32 v25, 0xffff0000, v20
	s_wait_alu 0xfffd
	v_cndmask_b32_e32 v23, v37, v38, vcc_lo
	v_cmp_u_f32_e32 vcc_lo, v28, v28
	s_wait_alu 0xfffd
	v_dual_cndmask_b32 v24, v39, v40 :: v_dual_and_b32 v29, 0xffff0000, v22
	s_delay_alu instid0(VALU_DEP_1) | instskip(NEXT) | instid1(VALU_DEP_1)
	v_dual_mul_f32 v25, v25, v25 :: v_dual_and_b32 v26, 0xffff0000, v24
	v_dual_fmac_f32 v25, v27, v27 :: v_dual_and_b32 v28, 0xffff0000, v21
	s_delay_alu instid0(VALU_DEP_3) | instskip(NEXT) | instid1(VALU_DEP_3)
	v_mul_f32_e32 v29, v29, v29
	v_dual_mul_f32 v26, v26, v26 :: v_dual_and_b32 v27, 0xffff0000, v23
	s_delay_alu instid0(VALU_DEP_3) | instskip(NEXT) | instid1(VALU_DEP_2)
	v_add_f32_e32 v25, v30, v25
	v_dual_fmac_f32 v29, v28, v28 :: v_dual_fmac_f32 v26, v27, v27
	s_delay_alu instid0(VALU_DEP_1) | instskip(NEXT) | instid1(VALU_DEP_1)
	v_add_f32_e32 v25, v25, v29
	v_add_f32_e32 v25, v25, v26
	ds_bpermute_b32 v26, v10, v25
	s_wait_dscnt 0x0
	v_add_f32_e32 v25, v25, v26
	ds_bpermute_b32 v26, v11, v25
	s_wait_dscnt 0x0
	;; [unrolled: 3-line block ×4, first 2 shown]
	v_add_f32_e32 v25, v25, v26
	ds_bpermute_b32 v26, v14, v25
	s_and_saveexec_b32 s6, s3
	s_cbranch_execz .LBB17_8
; %bb.7:
	s_wait_dscnt 0x0
	v_add_f32_e32 v25, v25, v26
	ds_store_b32 v16, v25
.LBB17_8:
	s_wait_alu 0xfffe
	s_or_b32 exec_lo, exec_lo, s6
	s_load_b128 s[8:11], s[0:1], 0x18
	s_wait_loadcnt_dscnt 0x0
	s_barrier_signal -1
	s_barrier_wait -1
	global_inv scope:SCOPE_SE
	s_and_saveexec_b32 s0, s2
; %bb.9:
	ds_load_b32 v0, v15
; %bb.10:
	s_or_b32 exec_lo, exec_lo, s0
	s_wait_dscnt 0x0
	ds_bpermute_b32 v10, v10, v0
	s_wait_dscnt 0x0
	v_add_f32_e32 v0, v0, v10
	ds_bpermute_b32 v10, v11, v0
	v_perm_b32 v11, v20, v19, 0x7060302
	s_wait_dscnt 0x0
	v_add_f32_e32 v0, v0, v10
	ds_bpermute_b32 v10, v12, v0
	v_perm_b32 v12, v18, v17, 0x7060302
	s_wait_dscnt 0x0
	v_add_f32_e32 v0, v0, v10
	ds_bpermute_b32 v10, v13, v0
	s_wait_dscnt 0x0
	v_add_f32_e32 v13, v0, v10
	v_perm_b32 v10, v22, v21, 0x7060302
	v_perm_b32 v0, v24, v23, 0x7060302
	ds_bpermute_b32 v14, v14, v13
	s_and_saveexec_b32 s0, s4
	s_cbranch_execz .LBB17_12
; %bb.11:
	s_wait_dscnt 0x0
	v_add_f32_e32 v13, v13, v14
	s_delay_alu instid0(VALU_DEP_1) | instskip(SKIP_1) | instid1(VALU_DEP_2)
	v_div_scale_f32 v14, null, s5, s5, v13
	v_div_scale_f32 v17, vcc_lo, v13, s5, v13
	v_rcp_f32_e32 v15, v14
	s_delay_alu instid0(TRANS32_DEP_1) | instskip(NEXT) | instid1(VALU_DEP_1)
	v_fma_f32 v16, -v14, v15, 1.0
	v_fmac_f32_e32 v15, v16, v15
	s_delay_alu instid0(VALU_DEP_1) | instskip(NEXT) | instid1(VALU_DEP_1)
	v_mul_f32_e32 v16, v17, v15
	v_fma_f32 v18, -v14, v16, v17
	s_delay_alu instid0(VALU_DEP_1) | instskip(NEXT) | instid1(VALU_DEP_1)
	v_fmac_f32_e32 v16, v18, v15
	v_fma_f32 v14, -v14, v16, v17
	s_wait_alu 0xfffd
	s_delay_alu instid0(VALU_DEP_1) | instskip(NEXT) | instid1(VALU_DEP_1)
	v_div_fmas_f32 v14, v14, v15, v16
	v_div_fixup_f32 v13, v14, s5, v13
	s_delay_alu instid0(VALU_DEP_1) | instskip(NEXT) | instid1(VALU_DEP_1)
	v_add_f32_e32 v13, s12, v13
	v_mul_f32_e32 v14, 0x4b800000, v13
	v_cmp_gt_f32_e32 vcc_lo, 0x800000, v13
	s_wait_alu 0xfffd
	s_delay_alu instid0(VALU_DEP_2) | instskip(NEXT) | instid1(VALU_DEP_1)
	v_cndmask_b32_e32 v13, v13, v14, vcc_lo
	v_rsq_f32_e32 v13, v13
	s_delay_alu instid0(TRANS32_DEP_1) | instskip(NEXT) | instid1(VALU_DEP_1)
	v_mul_f32_e32 v14, 0x45800000, v13
	v_dual_cndmask_b32 v13, v13, v14 :: v_dual_mov_b32 v14, 0
	ds_store_b32 v14, v13 offset:128
.LBB17_12:
	s_or_b32 exec_lo, exec_lo, s0
	s_wait_kmcnt 0x0
	v_add_co_u32 v15, s0, s8, v9
	s_delay_alu instid0(VALU_DEP_1)
	v_add_co_ci_u32_e64 v16, null, s9, 0, s0
	v_add_co_u32 v13, s0, s10, v9
	s_wait_dscnt 0x0
	s_wait_alu 0xf1ff
	v_add_co_ci_u32_e64 v14, null, s11, 0, s0
	s_wait_loadcnt 0x0
	v_add_co_u32 v13, vcc_lo, v13, s14
	s_barrier_signal -1
	s_barrier_wait -1
	global_inv scope:SCOPE_SE
	s_clause 0x1
	global_load_b32 v17, v9, s[10:11]
	global_load_b32 v9, v9, s[8:9]
	s_wait_alu 0xfffd
	v_add_co_ci_u32_e64 v14, null, 0, v14, vcc_lo
	v_add_co_u32 v15, vcc_lo, v15, s14
	s_wait_alu 0xfffd
	v_add_co_ci_u32_e64 v16, null, 0, v16, vcc_lo
	global_load_b32 v18, v[13:14], off
	global_load_b32 v19, v[15:16], off
	v_add_co_u32 v13, vcc_lo, v13, s14
	s_wait_alu 0xfffd
	v_add_co_ci_u32_e64 v14, null, 0, v14, vcc_lo
	v_add_co_u32 v15, vcc_lo, v15, s14
	s_wait_alu 0xfffd
	v_add_co_ci_u32_e64 v16, null, 0, v16, vcc_lo
	global_load_b32 v20, v[13:14], off
	global_load_b32 v21, v[15:16], off
	v_add_co_u32 v13, vcc_lo, v13, s14
	s_wait_alu 0xfffd
	v_add_co_ci_u32_e64 v14, null, 0, v14, vcc_lo
	v_add_co_u32 v15, vcc_lo, v15, s14
	s_wait_alu 0xfffd
	v_add_co_ci_u32_e64 v16, null, 0, v16, vcc_lo
	global_load_b32 v13, v[13:14], off
	global_load_b32 v14, v[15:16], off
	v_dual_mov_b32 v15, 0 :: v_dual_and_b32 v24, 0xffff0000, v0
	v_lshlrev_b32_e32 v0, 16, v0
	ds_load_b32 v15, v15 offset:128
	s_wait_dscnt 0x0
	v_bfe_u32 v16, v15, 16, 1
	v_or_b32_e32 v22, 0x400000, v15
	v_cmp_u_f32_e32 vcc_lo, v15, v15
	s_delay_alu instid0(VALU_DEP_3) | instskip(NEXT) | instid1(VALU_DEP_1)
	v_add_nc_u32_e32 v16, v16, v15
	v_add_nc_u32_e32 v16, 0x7fff, v16
	s_wait_alu 0xfffd
	s_delay_alu instid0(VALU_DEP_1) | instskip(NEXT) | instid1(VALU_DEP_1)
	v_dual_cndmask_b32 v15, v16, v22 :: v_dual_and_b32 v16, 0xffff0000, v12
	v_and_b32_e32 v15, 0xffff0000, v15
	s_delay_alu instid0(VALU_DEP_1) | instskip(NEXT) | instid1(VALU_DEP_3)
	v_mul_f32_e32 v24, v15, v24
	v_mul_f32_e32 v16, v15, v16
	;; [unrolled: 1-line block ×3, first 2 shown]
	s_delay_alu instid0(VALU_DEP_3) | instskip(SKIP_1) | instid1(VALU_DEP_4)
	v_bfe_u32 v36, v24, 16, 1
	v_or_b32_e32 v37, 0x400000, v24
	v_or_b32_e32 v25, 0x400000, v16
	v_cmp_u_f32_e32 vcc_lo, v16, v16
	s_delay_alu instid0(VALU_DEP_4) | instskip(SKIP_3) | instid1(VALU_DEP_3)
	v_add3_u32 v36, v36, v24, 0x7fff
	v_and_b32_e32 v22, 0xffff0000, v11
	v_lshlrev_b32_e32 v11, 16, v11
	v_lshlrev_b32_e32 v12, 16, v12
	v_mul_f32_e32 v22, v15, v22
	s_delay_alu instid0(VALU_DEP_3) | instskip(NEXT) | instid1(VALU_DEP_3)
	v_mul_f32_e32 v11, v15, v11
	v_dual_mul_f32 v12, v15, v12 :: v_dual_and_b32 v23, 0xffff0000, v10
	v_lshlrev_b32_e32 v10, 16, v10
	s_delay_alu instid0(VALU_DEP_3) | instskip(NEXT) | instid1(VALU_DEP_3)
	v_bfe_u32 v30, v11, 16, 1
	v_mul_f32_e32 v23, v15, v23
	s_delay_alu instid0(VALU_DEP_4) | instskip(NEXT) | instid1(VALU_DEP_4)
	v_bfe_u32 v26, v12, 16, 1
	v_mul_f32_e32 v10, v15, v10
	v_bfe_u32 v15, v16, 16, 1
	v_or_b32_e32 v27, 0x400000, v12
	v_or_b32_e32 v31, 0x400000, v11
	v_add3_u32 v26, v26, v12, 0x7fff
	v_add3_u32 v30, v30, v11, 0x7fff
	;; [unrolled: 1-line block ×3, first 2 shown]
	v_bfe_u32 v32, v23, 16, 1
	v_or_b32_e32 v33, 0x400000, v23
	s_wait_alu 0xfffd
	s_delay_alu instid0(VALU_DEP_3) | instskip(SKIP_2) | instid1(VALU_DEP_3)
	v_cndmask_b32_e32 v15, v15, v25, vcc_lo
	v_cmp_u_f32_e32 vcc_lo, v12, v12
	v_add3_u32 v32, v32, v23, 0x7fff
	v_and_b32_e32 v15, 0xffff0000, v15
	v_bfe_u32 v28, v22, 16, 1
	v_or_b32_e32 v29, 0x400000, v22
	s_wait_alu 0xfffd
	v_cndmask_b32_e32 v12, v26, v27, vcc_lo
	v_cmp_u_f32_e32 vcc_lo, v22, v22
	v_add3_u32 v28, v28, v22, 0x7fff
	s_wait_alu 0xfffd
	s_delay_alu instid0(VALU_DEP_1) | instskip(SKIP_4) | instid1(VALU_DEP_2)
	v_cndmask_b32_e32 v16, v28, v29, vcc_lo
	v_cmp_u_f32_e32 vcc_lo, v11, v11
	s_wait_alu 0xfffd
	v_cndmask_b32_e32 v11, v30, v31, vcc_lo
	v_cmp_u_f32_e32 vcc_lo, v23, v23
	v_and_b32_e32 v11, 0xffff0000, v11
	v_bfe_u32 v34, v10, 16, 1
	v_or_b32_e32 v35, 0x400000, v10
	s_wait_alu 0xfffd
	v_cndmask_b32_e32 v22, v32, v33, vcc_lo
	v_cmp_u_f32_e32 vcc_lo, v10, v10
	v_add3_u32 v34, v34, v10, 0x7fff
	s_wait_loadcnt 0x6
	s_wait_alu 0xfffd
	s_delay_alu instid0(VALU_DEP_1)
	v_dual_cndmask_b32 v10, v34, v35 :: v_dual_lshlrev_b32 v25, 16, v9
	v_cmp_u_f32_e32 vcc_lo, v24, v24
	v_lshlrev_b32_e32 v24, 16, v17
	v_and_b32_e32 v9, 0xffff0000, v9
	v_and_b32_e32 v12, 0xffff0000, v12
	;; [unrolled: 1-line block ×3, first 2 shown]
	v_bfe_u32 v38, v0, 16, 1
	s_wait_alu 0xfffd
	v_cndmask_b32_e32 v23, v36, v37, vcc_lo
	v_or_b32_e32 v39, 0x400000, v0
	v_fmac_f32_e32 v24, v12, v25
	v_cmp_u_f32_e32 vcc_lo, v0, v0
	v_add3_u32 v38, v38, v0, 0x7fff
	v_fmac_f32_e32 v17, v15, v9
	v_and_b32_e32 v9, 0xffff0000, v23
	v_and_b32_e32 v16, 0xffff0000, v16
	s_wait_loadcnt 0x5
	v_lshlrev_b32_e32 v25, 16, v18
	s_wait_loadcnt 0x4
	v_lshlrev_b32_e32 v26, 16, v19
	v_and_b32_e32 v18, 0xffff0000, v18
	v_and_b32_e32 v19, 0xffff0000, v19
	v_bfe_u32 v15, v24, 16, 1
	s_wait_alu 0xfffd
	v_dual_cndmask_b32 v0, v38, v39 :: v_dual_fmac_f32 v25, v11, v26
	v_bfe_u32 v23, v17, 16, 1
	s_wait_loadcnt 0x3
	v_dual_fmac_f32 v18, v16, v19 :: v_dual_lshlrev_b32 v11, 16, v20
	v_add3_u32 v15, v15, v24, 0x7fff
	s_wait_loadcnt 0x2
	v_lshlrev_b32_e32 v16, 16, v21
	v_and_b32_e32 v12, 0xffff0000, v22
	v_or_b32_e32 v22, 0x400000, v24
	v_cmp_u_f32_e32 vcc_lo, v24, v24
	v_or_b32_e32 v27, 0x400000, v17
	v_add3_u32 v23, v23, v17, 0x7fff
	v_or_b32_e32 v24, 0x400000, v18
	s_wait_alu 0xfffd
	v_cndmask_b32_e32 v15, v15, v22, vcc_lo
	v_cmp_u_f32_e32 vcc_lo, v17, v17
	v_or_b32_e32 v22, 0x400000, v25
	s_wait_alu 0xfffd
	v_cndmask_b32_e32 v17, v23, v27, vcc_lo
	v_cmp_u_f32_e32 vcc_lo, v25, v25
	v_and_b32_e32 v19, 0xffff0000, v20
	v_and_b32_e32 v20, 0xffff0000, v21
	;; [unrolled: 1-line block ×3, first 2 shown]
	v_bfe_u32 v21, v25, 16, 1
	v_bfe_u32 v23, v18, 16, 1
	s_delay_alu instid0(VALU_DEP_4)
	v_fmac_f32_e32 v19, v12, v20
	s_wait_loadcnt 0x1
	v_dual_fmac_f32 v11, v10, v16 :: v_dual_lshlrev_b32 v10, 16, v13
	s_wait_loadcnt 0x0
	v_lshlrev_b32_e32 v12, 16, v14
	v_add3_u32 v16, v21, v25, 0x7fff
	v_add3_u32 v20, v23, v18, 0x7fff
	v_or_b32_e32 v23, 0x400000, v11
	v_and_b32_e32 v0, 0xffff0000, v0
	v_and_b32_e32 v13, 0xffff0000, v13
	;; [unrolled: 1-line block ×3, first 2 shown]
	v_bfe_u32 v21, v11, 16, 1
	v_bfe_u32 v26, v19, 16, 1
	v_fmac_f32_e32 v10, v0, v12
	s_wait_alu 0xfffd
	v_cndmask_b32_e32 v0, v16, v22, vcc_lo
	v_cmp_u_f32_e32 vcc_lo, v18, v18
	v_fmac_f32_e32 v13, v9, v14
	v_add3_u32 v12, v21, v11, 0x7fff
	v_or_b32_e32 v27, 0x400000, v19
	v_add3_u32 v14, v26, v19, 0x7fff
	s_wait_alu 0xfffd
	v_cndmask_b32_e32 v9, v20, v24, vcc_lo
	v_cmp_u_f32_e32 vcc_lo, v11, v11
	v_bfe_u32 v16, v10, 16, 1
	v_or_b32_e32 v18, 0x400000, v10
	v_bfe_u32 v20, v13, 16, 1
	v_or_b32_e32 v21, 0x400000, v13
	s_wait_alu 0xfffd
	v_cndmask_b32_e32 v11, v12, v23, vcc_lo
	v_cmp_u_f32_e32 vcc_lo, v19, v19
	v_add3_u32 v12, v16, v10, 0x7fff
	v_add3_u32 v16, v20, v13, 0x7fff
	v_perm_b32 v0, v9, v0, 0x7060302
	s_wait_alu 0xfffd
	v_cndmask_b32_e32 v14, v14, v27, vcc_lo
	v_cmp_u_f32_e32 vcc_lo, v10, v10
	s_delay_alu instid0(VALU_DEP_2)
	v_perm_b32 v9, v14, v11, 0x7060302
	s_wait_alu 0xfffd
	v_cndmask_b32_e32 v10, v12, v18, vcc_lo
	v_cmp_u_f32_e32 vcc_lo, v13, v13
	v_perm_b32 v13, v17, v15, 0x7060302
	s_wait_alu 0xfffd
	v_cndmask_b32_e32 v12, v16, v21, vcc_lo
	s_delay_alu instid0(VALU_DEP_1)
	v_perm_b32 v10, v12, v10, 0x7060302
	s_clause 0x3
	global_store_b32 v[1:2], v13, off
	global_store_b32 v[3:4], v0, off
	;; [unrolled: 1-line block ×4, first 2 shown]
	s_endpgm
	.section	.rodata,"a",@progbits
	.p2align	6, 0x0
	.amdhsa_kernel _Z30addBiasResidualPostLayerNormV2I14__hip_bfloat16Li32EEvPT_PKS1_S4_S4_S4_fi
		.amdhsa_group_segment_fixed_size 136
		.amdhsa_private_segment_fixed_size 0
		.amdhsa_kernarg_size 304
		.amdhsa_user_sgpr_count 2
		.amdhsa_user_sgpr_dispatch_ptr 0
		.amdhsa_user_sgpr_queue_ptr 0
		.amdhsa_user_sgpr_kernarg_segment_ptr 1
		.amdhsa_user_sgpr_dispatch_id 0
		.amdhsa_user_sgpr_private_segment_size 0
		.amdhsa_wavefront_size32 1
		.amdhsa_uses_dynamic_stack 0
		.amdhsa_enable_private_segment 0
		.amdhsa_system_sgpr_workgroup_id_x 1
		.amdhsa_system_sgpr_workgroup_id_y 0
		.amdhsa_system_sgpr_workgroup_id_z 0
		.amdhsa_system_sgpr_workgroup_info 0
		.amdhsa_system_vgpr_workitem_id 0
		.amdhsa_next_free_vgpr 41
		.amdhsa_next_free_sgpr 15
		.amdhsa_reserve_vcc 1
		.amdhsa_float_round_mode_32 0
		.amdhsa_float_round_mode_16_64 0
		.amdhsa_float_denorm_mode_32 3
		.amdhsa_float_denorm_mode_16_64 3
		.amdhsa_fp16_overflow 0
		.amdhsa_workgroup_processor_mode 1
		.amdhsa_memory_ordered 1
		.amdhsa_forward_progress 1
		.amdhsa_inst_pref_size 42
		.amdhsa_round_robin_scheduling 0
		.amdhsa_exception_fp_ieee_invalid_op 0
		.amdhsa_exception_fp_denorm_src 0
		.amdhsa_exception_fp_ieee_div_zero 0
		.amdhsa_exception_fp_ieee_overflow 0
		.amdhsa_exception_fp_ieee_underflow 0
		.amdhsa_exception_fp_ieee_inexact 0
		.amdhsa_exception_int_div_zero 0
	.end_amdhsa_kernel
	.section	.text._Z30addBiasResidualPostLayerNormV2I14__hip_bfloat16Li32EEvPT_PKS1_S4_S4_S4_fi,"axG",@progbits,_Z30addBiasResidualPostLayerNormV2I14__hip_bfloat16Li32EEvPT_PKS1_S4_S4_S4_fi,comdat
.Lfunc_end17:
	.size	_Z30addBiasResidualPostLayerNormV2I14__hip_bfloat16Li32EEvPT_PKS1_S4_S4_S4_fi, .Lfunc_end17-_Z30addBiasResidualPostLayerNormV2I14__hip_bfloat16Li32EEvPT_PKS1_S4_S4_S4_fi
                                        ; -- End function
	.set _Z30addBiasResidualPostLayerNormV2I14__hip_bfloat16Li32EEvPT_PKS1_S4_S4_S4_fi.num_vgpr, 41
	.set _Z30addBiasResidualPostLayerNormV2I14__hip_bfloat16Li32EEvPT_PKS1_S4_S4_S4_fi.num_agpr, 0
	.set _Z30addBiasResidualPostLayerNormV2I14__hip_bfloat16Li32EEvPT_PKS1_S4_S4_S4_fi.numbered_sgpr, 15
	.set _Z30addBiasResidualPostLayerNormV2I14__hip_bfloat16Li32EEvPT_PKS1_S4_S4_S4_fi.num_named_barrier, 0
	.set _Z30addBiasResidualPostLayerNormV2I14__hip_bfloat16Li32EEvPT_PKS1_S4_S4_S4_fi.private_seg_size, 0
	.set _Z30addBiasResidualPostLayerNormV2I14__hip_bfloat16Li32EEvPT_PKS1_S4_S4_S4_fi.uses_vcc, 1
	.set _Z30addBiasResidualPostLayerNormV2I14__hip_bfloat16Li32EEvPT_PKS1_S4_S4_S4_fi.uses_flat_scratch, 0
	.set _Z30addBiasResidualPostLayerNormV2I14__hip_bfloat16Li32EEvPT_PKS1_S4_S4_S4_fi.has_dyn_sized_stack, 0
	.set _Z30addBiasResidualPostLayerNormV2I14__hip_bfloat16Li32EEvPT_PKS1_S4_S4_S4_fi.has_recursion, 0
	.set _Z30addBiasResidualPostLayerNormV2I14__hip_bfloat16Li32EEvPT_PKS1_S4_S4_S4_fi.has_indirect_call, 0
	.section	.AMDGPU.csdata,"",@progbits
; Kernel info:
; codeLenInByte = 5252
; TotalNumSgprs: 17
; NumVgprs: 41
; ScratchSize: 0
; MemoryBound: 0
; FloatMode: 240
; IeeeMode: 1
; LDSByteSize: 136 bytes/workgroup (compile time only)
; SGPRBlocks: 0
; VGPRBlocks: 5
; NumSGPRsForWavesPerEU: 17
; NumVGPRsForWavesPerEU: 41
; Occupancy: 16
; WaveLimiterHint : 0
; COMPUTE_PGM_RSRC2:SCRATCH_EN: 0
; COMPUTE_PGM_RSRC2:USER_SGPR: 2
; COMPUTE_PGM_RSRC2:TRAP_HANDLER: 0
; COMPUTE_PGM_RSRC2:TGID_X_EN: 1
; COMPUTE_PGM_RSRC2:TGID_Y_EN: 0
; COMPUTE_PGM_RSRC2:TGID_Z_EN: 0
; COMPUTE_PGM_RSRC2:TIDIG_COMP_CNT: 0
	.section	.text._Z28addBiasResidualPostLayerNormI14__hip_bfloat16Li1ELi64EEvPT_PKS1_S4_S4_S4_fi,"axG",@progbits,_Z28addBiasResidualPostLayerNormI14__hip_bfloat16Li1ELi64EEvPT_PKS1_S4_S4_S4_fi,comdat
	.protected	_Z28addBiasResidualPostLayerNormI14__hip_bfloat16Li1ELi64EEvPT_PKS1_S4_S4_S4_fi ; -- Begin function _Z28addBiasResidualPostLayerNormI14__hip_bfloat16Li1ELi64EEvPT_PKS1_S4_S4_S4_fi
	.globl	_Z28addBiasResidualPostLayerNormI14__hip_bfloat16Li1ELi64EEvPT_PKS1_S4_S4_S4_fi
	.p2align	8
	.type	_Z28addBiasResidualPostLayerNormI14__hip_bfloat16Li1ELi64EEvPT_PKS1_S4_S4_S4_fi,@function
_Z28addBiasResidualPostLayerNormI14__hip_bfloat16Li1ELi64EEvPT_PKS1_S4_S4_S4_fi: ; @_Z28addBiasResidualPostLayerNormI14__hip_bfloat16Li1ELi64EEvPT_PKS1_S4_S4_S4_fi
; %bb.0:
	s_clause 0x1
	s_load_b64 s[8:9], s[0:1], 0x28
	s_load_b64 s[6:7], s[0:1], 0x0
	v_mov_b32_e32 v5, 0
	v_lshlrev_b32_e32 v1, 1, v0
                                        ; implicit-def: $vgpr2
	s_wait_kmcnt 0x0
	v_cmp_gt_i32_e64 s2, s9, v0
	s_and_saveexec_b32 s3, s2
	s_cbranch_execz .LBB18_2
; %bb.1:
	s_load_b128 s[12:15], s[0:1], 0x8
	v_mad_co_u64_u32 v[2:3], null, s9, ttmp9, v[0:1]
	v_mov_b32_e32 v3, 0
	s_delay_alu instid0(VALU_DEP_1) | instskip(NEXT) | instid1(VALU_DEP_3)
	v_mov_b32_e32 v8, v3
	v_lshlrev_b64_e32 v[4:5], 1, v[2:3]
	v_mov_b32_e32 v2, v3
	s_delay_alu instid0(VALU_DEP_2) | instskip(NEXT) | instid1(VALU_DEP_1)
	v_add_co_u32 v6, vcc_lo, s6, v4
	v_add_co_ci_u32_e64 v7, null, s7, v5, vcc_lo
	s_wait_kmcnt 0x0
	v_add_co_u32 v4, vcc_lo, s12, v4
	s_wait_alu 0xfffd
	v_add_co_ci_u32_e64 v5, null, s13, v5, vcc_lo
	global_load_d16_hi_b16 v2, v[6:7], off
	global_load_d16_hi_b16 v8, v[4:5], off
	global_load_d16_hi_b16 v3, v1, s[14:15]
	s_wait_loadcnt 0x1
	v_add_f32_e32 v2, v2, v8
	s_delay_alu instid0(VALU_DEP_1) | instskip(SKIP_2) | instid1(VALU_DEP_3)
	v_bfe_u32 v4, v2, 16, 1
	v_or_b32_e32 v5, 0x400000, v2
	v_cmp_u_f32_e32 vcc_lo, v2, v2
	v_add3_u32 v4, v4, v2, 0x7fff
	s_wait_alu 0xfffd
	s_delay_alu instid0(VALU_DEP_1) | instskip(NEXT) | instid1(VALU_DEP_1)
	v_cndmask_b32_e32 v2, v4, v5, vcc_lo
	v_and_b32_e32 v2, 0xffff0000, v2
	s_wait_loadcnt 0x0
	s_delay_alu instid0(VALU_DEP_1) | instskip(NEXT) | instid1(VALU_DEP_1)
	v_add_f32_e32 v2, v2, v3
	v_bfe_u32 v3, v2, 16, 1
	v_or_b32_e32 v4, 0x400000, v2
	v_cmp_u_f32_e32 vcc_lo, v2, v2
	s_delay_alu instid0(VALU_DEP_3) | instskip(SKIP_1) | instid1(VALU_DEP_1)
	v_add3_u32 v3, v3, v2, 0x7fff
	s_wait_alu 0xfffd
	v_cndmask_b32_e32 v2, v3, v4, vcc_lo
	s_delay_alu instid0(VALU_DEP_1) | instskip(NEXT) | instid1(VALU_DEP_1)
	v_and_b32_e32 v2, 0xffff0000, v2
	v_add_f32_e32 v5, 0, v2
.LBB18_2:
	s_or_b32 exec_lo, exec_lo, s3
	v_mbcnt_lo_u32_b32 v8, -1, 0
	s_delay_alu instid0(VALU_DEP_1) | instskip(SKIP_2) | instid1(VALU_DEP_3)
	v_or_b32_e32 v3, 32, v8
	v_xor_b32_e32 v4, 16, v8
	v_xor_b32_e32 v11, 1, v8
	v_cmp_gt_i32_e32 vcc_lo, 64, v3
	s_wait_alu 0xfffd
	v_cndmask_b32_e32 v3, v8, v3, vcc_lo
	v_cmp_gt_i32_e32 vcc_lo, 64, v4
	s_wait_alu 0xfffd
	v_cndmask_b32_e32 v4, v8, v4, vcc_lo
	s_delay_alu instid0(VALU_DEP_1)
	v_lshlrev_b32_e32 v4, 2, v4
	v_lshlrev_b32_e32 v3, 2, v3
	ds_bpermute_b32 v6, v3, v5
	s_wait_dscnt 0x0
	v_add_f32_e32 v6, v5, v6
	v_xor_b32_e32 v5, 8, v8
	ds_bpermute_b32 v7, v4, v6
	v_cmp_gt_i32_e32 vcc_lo, 64, v5
	s_wait_alu 0xfffd
	v_cndmask_b32_e32 v5, v8, v5, vcc_lo
	s_wait_dscnt 0x0
	v_add_f32_e32 v7, v6, v7
	v_xor_b32_e32 v6, 4, v8
	s_delay_alu instid0(VALU_DEP_1) | instskip(SKIP_2) | instid1(VALU_DEP_1)
	v_cmp_gt_i32_e32 vcc_lo, 64, v6
	s_wait_alu 0xfffd
	v_cndmask_b32_e32 v6, v8, v6, vcc_lo
	v_lshlrev_b32_e32 v6, 2, v6
	v_lshlrev_b32_e32 v5, 2, v5
	ds_bpermute_b32 v9, v5, v7
	s_wait_dscnt 0x0
	v_add_f32_e32 v9, v7, v9
	v_xor_b32_e32 v7, 2, v8
	s_delay_alu instid0(VALU_DEP_1)
	v_cmp_gt_i32_e32 vcc_lo, 64, v7
	s_wait_alu 0xfffd
	v_cndmask_b32_e32 v7, v8, v7, vcc_lo
	v_cmp_gt_i32_e32 vcc_lo, 64, v11
	s_wait_alu 0xfffd
	v_cndmask_b32_e32 v8, v8, v11, vcc_lo
	ds_bpermute_b32 v10, v6, v9
	v_lshlrev_b32_e32 v8, 2, v8
	v_lshlrev_b32_e32 v7, 2, v7
	s_wait_dscnt 0x0
	v_add_f32_e32 v9, v9, v10
	ds_bpermute_b32 v10, v7, v9
	s_wait_dscnt 0x0
	v_dual_add_f32 v11, v9, v10 :: v_dual_and_b32 v10, 63, v0
	v_lshrrev_b32_e32 v9, 4, v0
	ds_bpermute_b32 v12, v8, v11
	v_cmp_eq_u32_e64 s3, 0, v10
	s_and_saveexec_b32 s4, s3
	s_cbranch_execz .LBB18_4
; %bb.3:
	s_wait_dscnt 0x0
	v_add_f32_e32 v11, v11, v12
	ds_store_b32 v9, v11
.LBB18_4:
	s_or_b32 exec_lo, exec_lo, s4
	s_wait_dscnt 0x0
	s_barrier_signal -1
	s_barrier_wait -1
	global_inv scope:SCOPE_SE
	s_load_b32 s4, s[0:1], 0x3c
	v_dual_mov_b32 v11, 0 :: v_dual_lshlrev_b32 v10, 2, v10
	s_wait_kmcnt 0x0
	s_bfe_u32 s4, s4, 0xa0006
	s_delay_alu instid0(SALU_CYCLE_1)
	v_cmp_gt_u32_e64 s4, s4, v0
	s_and_saveexec_b32 s5, s4
; %bb.5:
	ds_load_b32 v11, v10
; %bb.6:
	s_wait_alu 0xfffe
	s_or_b32 exec_lo, exec_lo, s5
	s_wait_dscnt 0x0
	ds_bpermute_b32 v12, v3, v11
	v_cmp_eq_u32_e64 s5, 0, v0
	s_cvt_f32_i32 s10, s9
	s_wait_dscnt 0x0
	v_add_f32_e32 v11, v11, v12
	ds_bpermute_b32 v12, v4, v11
	s_wait_dscnt 0x0
	v_add_f32_e32 v11, v11, v12
	ds_bpermute_b32 v12, v5, v11
	s_wait_dscnt 0x0
	v_add_f32_e32 v11, v11, v12
	ds_bpermute_b32 v12, v6, v11
	s_wait_dscnt 0x0
	v_add_f32_e32 v11, v11, v12
	ds_bpermute_b32 v12, v7, v11
	s_wait_dscnt 0x0
	v_add_f32_e32 v11, v11, v12
	ds_bpermute_b32 v12, v8, v11
	s_and_saveexec_b32 s11, s5
	s_cbranch_execz .LBB18_8
; %bb.7:
	s_wait_dscnt 0x0
	v_add_f32_e32 v11, v11, v12
	s_delay_alu instid0(VALU_DEP_1) | instskip(SKIP_1) | instid1(VALU_DEP_2)
	v_div_scale_f32 v12, null, s10, s10, v11
	v_div_scale_f32 v15, vcc_lo, v11, s10, v11
	v_rcp_f32_e32 v13, v12
	s_delay_alu instid0(TRANS32_DEP_1) | instskip(NEXT) | instid1(VALU_DEP_1)
	v_fma_f32 v14, -v12, v13, 1.0
	v_fmac_f32_e32 v13, v14, v13
	s_delay_alu instid0(VALU_DEP_1) | instskip(NEXT) | instid1(VALU_DEP_1)
	v_mul_f32_e32 v14, v15, v13
	v_fma_f32 v16, -v12, v14, v15
	s_delay_alu instid0(VALU_DEP_1) | instskip(NEXT) | instid1(VALU_DEP_1)
	v_fmac_f32_e32 v14, v16, v13
	v_fma_f32 v12, -v12, v14, v15
	s_wait_alu 0xfffd
	s_delay_alu instid0(VALU_DEP_1) | instskip(NEXT) | instid1(VALU_DEP_1)
	v_div_fmas_f32 v12, v12, v13, v14
	v_div_fixup_f32 v11, v12, s10, v11
	v_mov_b32_e32 v12, 0
	ds_store_b32 v12, v11 offset:68
.LBB18_8:
	s_or_b32 exec_lo, exec_lo, s11
	v_mov_b32_e32 v11, 0
	s_wait_loadcnt_dscnt 0x0
	s_barrier_signal -1
	s_barrier_wait -1
	global_inv scope:SCOPE_SE
	ds_load_b32 v12, v11 offset:68
	s_wait_dscnt 0x0
	v_sub_f32_e32 v12, v2, v12
	s_delay_alu instid0(VALU_DEP_1) | instskip(NEXT) | instid1(VALU_DEP_1)
	v_mul_f32_e32 v12, v12, v12
	v_cndmask_b32_e64 v12, 0, v12, s2
	ds_bpermute_b32 v13, v3, v12
	s_wait_dscnt 0x0
	v_add_f32_e32 v12, v12, v13
	ds_bpermute_b32 v13, v4, v12
	s_wait_dscnt 0x0
	v_add_f32_e32 v12, v12, v13
	;; [unrolled: 3-line block ×5, first 2 shown]
	ds_bpermute_b32 v13, v8, v12
	s_and_saveexec_b32 s11, s3
	s_cbranch_execz .LBB18_10
; %bb.9:
	s_wait_dscnt 0x0
	v_add_f32_e32 v12, v12, v13
	ds_store_b32 v9, v12
.LBB18_10:
	s_wait_alu 0xfffe
	s_or_b32 exec_lo, exec_lo, s11
	s_wait_loadcnt_dscnt 0x0
	s_barrier_signal -1
	s_barrier_wait -1
	global_inv scope:SCOPE_SE
	s_and_saveexec_b32 s3, s4
; %bb.11:
	ds_load_b32 v11, v10
; %bb.12:
	s_wait_alu 0xfffe
	s_or_b32 exec_lo, exec_lo, s3
	s_wait_dscnt 0x0
	ds_bpermute_b32 v3, v3, v11
	s_wait_dscnt 0x0
	v_add_f32_e32 v3, v11, v3
	ds_bpermute_b32 v4, v4, v3
	s_wait_dscnt 0x0
	v_add_f32_e32 v3, v3, v4
	;; [unrolled: 3-line block ×5, first 2 shown]
	ds_bpermute_b32 v4, v8, v3
	s_and_saveexec_b32 s3, s5
	s_cbranch_execz .LBB18_14
; %bb.13:
	s_wait_dscnt 0x0
	v_add_f32_e32 v3, v3, v4
	s_delay_alu instid0(VALU_DEP_1) | instskip(SKIP_1) | instid1(VALU_DEP_2)
	v_div_scale_f32 v4, null, s10, s10, v3
	v_div_scale_f32 v7, vcc_lo, v3, s10, v3
	v_rcp_f32_e32 v5, v4
	s_delay_alu instid0(TRANS32_DEP_1) | instskip(NEXT) | instid1(VALU_DEP_1)
	v_fma_f32 v6, -v4, v5, 1.0
	v_fmac_f32_e32 v5, v6, v5
	s_delay_alu instid0(VALU_DEP_1) | instskip(NEXT) | instid1(VALU_DEP_1)
	v_mul_f32_e32 v6, v7, v5
	v_fma_f32 v8, -v4, v6, v7
	s_delay_alu instid0(VALU_DEP_1) | instskip(NEXT) | instid1(VALU_DEP_1)
	v_fmac_f32_e32 v6, v8, v5
	v_fma_f32 v4, -v4, v6, v7
	s_wait_alu 0xfffd
	s_delay_alu instid0(VALU_DEP_1) | instskip(NEXT) | instid1(VALU_DEP_1)
	v_div_fmas_f32 v4, v4, v5, v6
	v_div_fixup_f32 v3, v4, s10, v3
	s_delay_alu instid0(VALU_DEP_1)
	v_dual_mov_b32 v4, 0 :: v_dual_add_f32 v3, s8, v3
	ds_store_b32 v4, v3 offset:64
.LBB18_14:
	s_wait_alu 0xfffe
	s_or_b32 exec_lo, exec_lo, s3
	s_wait_loadcnt_dscnt 0x0
	s_barrier_signal -1
	s_barrier_wait -1
	global_inv scope:SCOPE_SE
	s_and_saveexec_b32 s3, s2
	s_cbranch_execz .LBB18_16
; %bb.15:
	s_load_b128 s[0:3], s[0:1], 0x18
	s_wait_kmcnt 0x0
	s_clause 0x1
	global_load_u16 v5, v1, s[0:1]
	global_load_u16 v1, v1, s[2:3]
	v_mov_b32_e32 v6, 0
	ds_load_b64 v[3:4], v6 offset:64
	s_wait_dscnt 0x0
	v_readfirstlane_b32 s0, v3
	v_sub_f32_e32 v2, v2, v4
	s_cmp_lt_f32 s0, 0x800000
	s_mul_f32 s1, s0, 0x4b800000
	s_wait_alu 0xfffe
	s_delay_alu instid0(SALU_CYCLE_2) | instskip(SKIP_2) | instid1(TRANS32_DEP_1)
	s_cselect_b32 s0, s1, s0
	s_wait_alu 0xfffe
	v_s_rsq_f32 s0, s0
	s_mul_f32 s1, s0, 0x45800000
	s_wait_alu 0xfffe
	s_delay_alu instid0(SALU_CYCLE_2)
	s_cselect_b32 s0, s1, s0
	s_wait_loadcnt 0x1
	s_wait_alu 0xfffe
	v_dual_mul_f32 v2, s0, v2 :: v_dual_lshlrev_b32 v3, 16, v5
	s_wait_loadcnt 0x0
	v_lshlrev_b32_e32 v4, 16, v1
	v_mad_co_u64_u32 v[0:1], null, s9, ttmp9, v[0:1]
	v_mov_b32_e32 v1, v6
	s_delay_alu instid0(VALU_DEP_3) | instskip(NEXT) | instid1(VALU_DEP_2)
	v_fmac_f32_e32 v4, v2, v3
	v_lshlrev_b64_e32 v[0:1], 1, v[0:1]
	s_delay_alu instid0(VALU_DEP_2) | instskip(SKIP_2) | instid1(VALU_DEP_3)
	v_bfe_u32 v2, v4, 16, 1
	v_or_b32_e32 v3, 0x400000, v4
	v_cmp_u_f32_e32 vcc_lo, v4, v4
	v_add3_u32 v2, v2, v4, 0x7fff
	s_wait_alu 0xfffd
	s_delay_alu instid0(VALU_DEP_1)
	v_cndmask_b32_e32 v2, v2, v3, vcc_lo
	v_add_co_u32 v0, vcc_lo, s6, v0
	s_wait_alu 0xfffd
	v_add_co_ci_u32_e64 v1, null, s7, v1, vcc_lo
	global_store_d16_hi_b16 v[0:1], v2, off
.LBB18_16:
	s_endpgm
	.section	.rodata,"a",@progbits
	.p2align	6, 0x0
	.amdhsa_kernel _Z28addBiasResidualPostLayerNormI14__hip_bfloat16Li1ELi64EEvPT_PKS1_S4_S4_S4_fi
		.amdhsa_group_segment_fixed_size 72
		.amdhsa_private_segment_fixed_size 0
		.amdhsa_kernarg_size 304
		.amdhsa_user_sgpr_count 2
		.amdhsa_user_sgpr_dispatch_ptr 0
		.amdhsa_user_sgpr_queue_ptr 0
		.amdhsa_user_sgpr_kernarg_segment_ptr 1
		.amdhsa_user_sgpr_dispatch_id 0
		.amdhsa_user_sgpr_private_segment_size 0
		.amdhsa_wavefront_size32 1
		.amdhsa_uses_dynamic_stack 0
		.amdhsa_enable_private_segment 0
		.amdhsa_system_sgpr_workgroup_id_x 1
		.amdhsa_system_sgpr_workgroup_id_y 0
		.amdhsa_system_sgpr_workgroup_id_z 0
		.amdhsa_system_sgpr_workgroup_info 0
		.amdhsa_system_vgpr_workitem_id 0
		.amdhsa_next_free_vgpr 17
		.amdhsa_next_free_sgpr 16
		.amdhsa_reserve_vcc 1
		.amdhsa_float_round_mode_32 0
		.amdhsa_float_round_mode_16_64 0
		.amdhsa_float_denorm_mode_32 3
		.amdhsa_float_denorm_mode_16_64 3
		.amdhsa_fp16_overflow 0
		.amdhsa_workgroup_processor_mode 1
		.amdhsa_memory_ordered 1
		.amdhsa_forward_progress 1
		.amdhsa_inst_pref_size 13
		.amdhsa_round_robin_scheduling 0
		.amdhsa_exception_fp_ieee_invalid_op 0
		.amdhsa_exception_fp_denorm_src 0
		.amdhsa_exception_fp_ieee_div_zero 0
		.amdhsa_exception_fp_ieee_overflow 0
		.amdhsa_exception_fp_ieee_underflow 0
		.amdhsa_exception_fp_ieee_inexact 0
		.amdhsa_exception_int_div_zero 0
	.end_amdhsa_kernel
	.section	.text._Z28addBiasResidualPostLayerNormI14__hip_bfloat16Li1ELi64EEvPT_PKS1_S4_S4_S4_fi,"axG",@progbits,_Z28addBiasResidualPostLayerNormI14__hip_bfloat16Li1ELi64EEvPT_PKS1_S4_S4_S4_fi,comdat
.Lfunc_end18:
	.size	_Z28addBiasResidualPostLayerNormI14__hip_bfloat16Li1ELi64EEvPT_PKS1_S4_S4_S4_fi, .Lfunc_end18-_Z28addBiasResidualPostLayerNormI14__hip_bfloat16Li1ELi64EEvPT_PKS1_S4_S4_S4_fi
                                        ; -- End function
	.set _Z28addBiasResidualPostLayerNormI14__hip_bfloat16Li1ELi64EEvPT_PKS1_S4_S4_S4_fi.num_vgpr, 17
	.set _Z28addBiasResidualPostLayerNormI14__hip_bfloat16Li1ELi64EEvPT_PKS1_S4_S4_S4_fi.num_agpr, 0
	.set _Z28addBiasResidualPostLayerNormI14__hip_bfloat16Li1ELi64EEvPT_PKS1_S4_S4_S4_fi.numbered_sgpr, 16
	.set _Z28addBiasResidualPostLayerNormI14__hip_bfloat16Li1ELi64EEvPT_PKS1_S4_S4_S4_fi.num_named_barrier, 0
	.set _Z28addBiasResidualPostLayerNormI14__hip_bfloat16Li1ELi64EEvPT_PKS1_S4_S4_S4_fi.private_seg_size, 0
	.set _Z28addBiasResidualPostLayerNormI14__hip_bfloat16Li1ELi64EEvPT_PKS1_S4_S4_S4_fi.uses_vcc, 1
	.set _Z28addBiasResidualPostLayerNormI14__hip_bfloat16Li1ELi64EEvPT_PKS1_S4_S4_S4_fi.uses_flat_scratch, 0
	.set _Z28addBiasResidualPostLayerNormI14__hip_bfloat16Li1ELi64EEvPT_PKS1_S4_S4_S4_fi.has_dyn_sized_stack, 0
	.set _Z28addBiasResidualPostLayerNormI14__hip_bfloat16Li1ELi64EEvPT_PKS1_S4_S4_S4_fi.has_recursion, 0
	.set _Z28addBiasResidualPostLayerNormI14__hip_bfloat16Li1ELi64EEvPT_PKS1_S4_S4_S4_fi.has_indirect_call, 0
	.section	.AMDGPU.csdata,"",@progbits
; Kernel info:
; codeLenInByte = 1640
; TotalNumSgprs: 18
; NumVgprs: 17
; ScratchSize: 0
; MemoryBound: 0
; FloatMode: 240
; IeeeMode: 1
; LDSByteSize: 72 bytes/workgroup (compile time only)
; SGPRBlocks: 0
; VGPRBlocks: 2
; NumSGPRsForWavesPerEU: 18
; NumVGPRsForWavesPerEU: 17
; Occupancy: 16
; WaveLimiterHint : 0
; COMPUTE_PGM_RSRC2:SCRATCH_EN: 0
; COMPUTE_PGM_RSRC2:USER_SGPR: 2
; COMPUTE_PGM_RSRC2:TRAP_HANDLER: 0
; COMPUTE_PGM_RSRC2:TGID_X_EN: 1
; COMPUTE_PGM_RSRC2:TGID_Y_EN: 0
; COMPUTE_PGM_RSRC2:TGID_Z_EN: 0
; COMPUTE_PGM_RSRC2:TIDIG_COMP_CNT: 0
	.section	.text._Z28addBiasResidualPostLayerNormI14__hip_bfloat16Li2ELi64EEvPT_PKS1_S4_S4_S4_fi,"axG",@progbits,_Z28addBiasResidualPostLayerNormI14__hip_bfloat16Li2ELi64EEvPT_PKS1_S4_S4_S4_fi,comdat
	.protected	_Z28addBiasResidualPostLayerNormI14__hip_bfloat16Li2ELi64EEvPT_PKS1_S4_S4_S4_fi ; -- Begin function _Z28addBiasResidualPostLayerNormI14__hip_bfloat16Li2ELi64EEvPT_PKS1_S4_S4_S4_fi
	.globl	_Z28addBiasResidualPostLayerNormI14__hip_bfloat16Li2ELi64EEvPT_PKS1_S4_S4_S4_fi
	.p2align	8
	.type	_Z28addBiasResidualPostLayerNormI14__hip_bfloat16Li2ELi64EEvPT_PKS1_S4_S4_S4_fi,@function
_Z28addBiasResidualPostLayerNormI14__hip_bfloat16Li2ELi64EEvPT_PKS1_S4_S4_S4_fi: ; @_Z28addBiasResidualPostLayerNormI14__hip_bfloat16Li2ELi64EEvPT_PKS1_S4_S4_S4_fi
; %bb.0:
	s_clause 0x1
	s_load_b64 s[10:11], s[0:1], 0x28
	s_load_b64 s[8:9], s[0:1], 0x0
	v_dual_mov_b32 v6, 0 :: v_dual_mov_b32 v3, 0
	s_delay_alu instid0(VALU_DEP_1)
	v_dual_mov_b32 v2, v6 :: v_dual_lshlrev_b32 v7, 1, v0
	s_wait_kmcnt 0x0
	s_mul_i32 s12, s11, ttmp9
	v_cmp_gt_i32_e64 s2, s11, v0
	v_add_nc_u32_e32 v1, s12, v0
	s_and_saveexec_b32 s3, s2
	s_cbranch_execz .LBB19_4
; %bb.1:
	s_clause 0x1
	s_load_b128 s[4:7], s[0:1], 0x8
	s_load_b32 s13, s[0:1], 0x3c
	v_mov_b32_e32 v2, 0
	s_delay_alu instid0(VALU_DEP_1) | instskip(SKIP_1) | instid1(VALU_DEP_2)
	v_lshlrev_b64_e32 v[3:4], 1, v[1:2]
	v_dual_mov_b32 v8, v2 :: v_dual_mov_b32 v9, v2
	v_add_co_u32 v5, vcc_lo, s8, v3
	s_delay_alu instid0(VALU_DEP_1)
	v_add_co_ci_u32_e64 v6, null, s9, v4, vcc_lo
	s_wait_kmcnt 0x0
	v_add_co_u32 v3, vcc_lo, s4, v3
	s_wait_alu 0xfffd
	v_add_co_ci_u32_e64 v4, null, s5, v4, vcc_lo
	s_and_b32 s14, s13, 0xffff
	s_mov_b32 s13, exec_lo
	global_load_d16_hi_b16 v8, v[5:6], off
	global_load_d16_hi_b16 v9, v[3:4], off
	s_wait_loadcnt 0x0
	v_dual_mov_b32 v3, v2 :: v_dual_add_f32 v4, v8, v9
	global_load_d16_hi_b16 v3, v7, s[6:7]
	v_bfe_u32 v5, v4, 16, 1
	v_or_b32_e32 v6, 0x400000, v4
	v_cmp_u_f32_e32 vcc_lo, v4, v4
	s_delay_alu instid0(VALU_DEP_3) | instskip(SKIP_1) | instid1(VALU_DEP_1)
	v_add3_u32 v5, v5, v4, 0x7fff
	s_wait_alu 0xfffd
	v_cndmask_b32_e32 v4, v5, v6, vcc_lo
	s_delay_alu instid0(VALU_DEP_1) | instskip(SKIP_1) | instid1(VALU_DEP_1)
	v_and_b32_e32 v4, 0xffff0000, v4
	s_wait_loadcnt 0x0
	v_add_f32_e32 v3, v4, v3
	s_delay_alu instid0(VALU_DEP_1) | instskip(SKIP_2) | instid1(VALU_DEP_3)
	v_bfe_u32 v4, v3, 16, 1
	v_or_b32_e32 v5, 0x400000, v3
	v_cmp_u_f32_e32 vcc_lo, v3, v3
	v_add3_u32 v4, v4, v3, 0x7fff
	s_wait_alu 0xfffd
	s_delay_alu instid0(VALU_DEP_1) | instskip(NEXT) | instid1(VALU_DEP_1)
	v_dual_cndmask_b32 v3, v4, v5 :: v_dual_add_nc_u32 v4, s14, v0
	v_and_b32_e32 v3, 0xffff0000, v3
	s_delay_alu instid0(VALU_DEP_1) | instskip(NEXT) | instid1(VALU_DEP_3)
	v_add_f32_e32 v6, 0, v3
	v_cmpx_gt_u32_e64 s11, v4
	s_cbranch_execz .LBB19_3
; %bb.2:
	v_dual_mov_b32 v5, 0 :: v_dual_add_nc_u32 v4, s12, v4
	s_delay_alu instid0(VALU_DEP_1) | instskip(SKIP_2) | instid1(VALU_DEP_3)
	v_lshlrev_b64_e32 v[8:9], 1, v[4:5]
	v_mov_b32_e32 v2, v5
	v_mov_b32_e32 v4, v5
	v_add_co_u32 v10, vcc_lo, s8, v8
	s_wait_alu 0xfffd
	s_delay_alu instid0(VALU_DEP_4)
	v_add_co_ci_u32_e64 v11, null, s9, v9, vcc_lo
	v_add_co_u32 v8, vcc_lo, s4, v8
	s_wait_alu 0xfffd
	v_add_co_ci_u32_e64 v9, null, s5, v9, vcc_lo
	global_load_d16_hi_b16 v2, v[10:11], off
	global_load_d16_hi_b16 v4, v[8:9], off
	v_add_co_u32 v8, s4, s6, v7
	s_wait_alu 0xf1ff
	v_add_co_ci_u32_e64 v9, null, s7, 0, s4
	s_lshl_b32 s4, s14, 1
	s_wait_alu 0xfffe
	v_add_co_u32 v8, vcc_lo, v8, s4
	s_wait_alu 0xfffd
	v_add_co_ci_u32_e64 v9, null, 0, v9, vcc_lo
	global_load_d16_hi_b16 v5, v[8:9], off
	s_wait_loadcnt 0x1
	v_add_f32_e32 v2, v2, v4
	s_delay_alu instid0(VALU_DEP_1) | instskip(SKIP_2) | instid1(VALU_DEP_3)
	v_bfe_u32 v4, v2, 16, 1
	v_or_b32_e32 v8, 0x400000, v2
	v_cmp_u_f32_e32 vcc_lo, v2, v2
	v_add3_u32 v4, v4, v2, 0x7fff
	s_wait_alu 0xfffd
	s_delay_alu instid0(VALU_DEP_1) | instskip(NEXT) | instid1(VALU_DEP_1)
	v_cndmask_b32_e32 v2, v4, v8, vcc_lo
	v_and_b32_e32 v2, 0xffff0000, v2
	s_wait_loadcnt 0x0
	s_delay_alu instid0(VALU_DEP_1) | instskip(NEXT) | instid1(VALU_DEP_1)
	v_add_f32_e32 v2, v2, v5
	v_bfe_u32 v4, v2, 16, 1
	v_or_b32_e32 v5, 0x400000, v2
	v_cmp_u_f32_e32 vcc_lo, v2, v2
	s_delay_alu instid0(VALU_DEP_3) | instskip(SKIP_1) | instid1(VALU_DEP_1)
	v_add3_u32 v4, v4, v2, 0x7fff
	s_wait_alu 0xfffd
	v_cndmask_b32_e32 v2, v4, v5, vcc_lo
	s_delay_alu instid0(VALU_DEP_1) | instskip(NEXT) | instid1(VALU_DEP_1)
	v_and_b32_e32 v2, 0xffff0000, v2
	v_add_f32_e32 v6, v6, v2
.LBB19_3:
	s_wait_alu 0xfffe
	s_or_b32 exec_lo, exec_lo, s13
.LBB19_4:
	s_delay_alu instid0(SALU_CYCLE_1) | instskip(SKIP_1) | instid1(VALU_DEP_1)
	s_or_b32 exec_lo, exec_lo, s3
	v_mbcnt_lo_u32_b32 v10, -1, 0
	v_or_b32_e32 v4, 32, v10
	v_xor_b32_e32 v5, 16, v10
	v_xor_b32_e32 v13, 1, v10
	s_delay_alu instid0(VALU_DEP_3)
	v_cmp_gt_i32_e32 vcc_lo, 64, v4
	s_wait_alu 0xfffd
	v_cndmask_b32_e32 v4, v10, v4, vcc_lo
	v_cmp_gt_i32_e32 vcc_lo, 64, v5
	s_wait_alu 0xfffd
	v_cndmask_b32_e32 v5, v10, v5, vcc_lo
	s_delay_alu instid0(VALU_DEP_1)
	v_lshlrev_b32_e32 v5, 2, v5
	v_lshlrev_b32_e32 v4, 2, v4
	ds_bpermute_b32 v8, v4, v6
	s_wait_dscnt 0x0
	v_add_f32_e32 v8, v6, v8
	v_xor_b32_e32 v6, 8, v10
	ds_bpermute_b32 v9, v5, v8
	v_cmp_gt_i32_e32 vcc_lo, 64, v6
	s_wait_alu 0xfffd
	v_cndmask_b32_e32 v6, v10, v6, vcc_lo
	s_wait_dscnt 0x0
	s_delay_alu instid0(VALU_DEP_1)
	v_dual_add_f32 v9, v8, v9 :: v_dual_lshlrev_b32 v6, 2, v6
	v_xor_b32_e32 v8, 4, v10
	ds_bpermute_b32 v11, v6, v9
	v_cmp_gt_i32_e32 vcc_lo, 64, v8
	s_wait_dscnt 0x0
	s_wait_alu 0xfffd
	v_dual_cndmask_b32 v8, v10, v8 :: v_dual_add_f32 v11, v9, v11
	v_xor_b32_e32 v9, 2, v10
	s_delay_alu instid0(VALU_DEP_1) | instskip(SKIP_1) | instid1(VALU_DEP_3)
	v_cmp_gt_i32_e32 vcc_lo, 64, v9
	s_wait_alu 0xfffd
	v_dual_cndmask_b32 v9, v10, v9 :: v_dual_lshlrev_b32 v8, 2, v8
	ds_bpermute_b32 v12, v8, v11
	v_cmp_gt_i32_e32 vcc_lo, 64, v13
	v_lshlrev_b32_e32 v9, 2, v9
	s_wait_alu 0xfffd
	v_cndmask_b32_e32 v10, v10, v13, vcc_lo
	s_wait_dscnt 0x0
	s_delay_alu instid0(VALU_DEP_1)
	v_dual_add_f32 v11, v11, v12 :: v_dual_lshlrev_b32 v10, 2, v10
	ds_bpermute_b32 v12, v9, v11
	s_wait_dscnt 0x0
	v_add_f32_e32 v13, v11, v12
	v_and_b32_e32 v12, 63, v0
	v_lshrrev_b32_e32 v11, 4, v0
	ds_bpermute_b32 v14, v10, v13
	v_cmp_eq_u32_e64 s3, 0, v12
	s_and_saveexec_b32 s4, s3
	s_cbranch_execz .LBB19_6
; %bb.5:
	s_wait_dscnt 0x0
	v_add_f32_e32 v13, v13, v14
	ds_store_b32 v11, v13
.LBB19_6:
	s_wait_alu 0xfffe
	s_or_b32 exec_lo, exec_lo, s4
	s_wait_dscnt 0x0
	s_barrier_signal -1
	s_barrier_wait -1
	global_inv scope:SCOPE_SE
	s_load_b32 s6, s[0:1], 0x3c
	v_dual_mov_b32 v13, 0 :: v_dual_lshlrev_b32 v12, 2, v12
	s_wait_kmcnt 0x0
	s_bfe_u32 s4, s6, 0xa0006
	s_wait_alu 0xfffe
	v_cmp_gt_u32_e64 s4, s4, v0
	s_and_saveexec_b32 s5, s4
; %bb.7:
	ds_load_b32 v13, v12
; %bb.8:
	s_wait_alu 0xfffe
	s_or_b32 exec_lo, exec_lo, s5
	s_wait_dscnt 0x0
	ds_bpermute_b32 v14, v4, v13
	v_cmp_eq_u32_e64 s5, 0, v0
	s_cvt_f32_i32 s7, s11
	s_wait_dscnt 0x0
	v_add_f32_e32 v13, v13, v14
	ds_bpermute_b32 v14, v5, v13
	s_wait_dscnt 0x0
	v_add_f32_e32 v13, v13, v14
	ds_bpermute_b32 v14, v6, v13
	;; [unrolled: 3-line block ×5, first 2 shown]
	s_and_saveexec_b32 s13, s5
	s_cbranch_execz .LBB19_10
; %bb.9:
	s_wait_dscnt 0x0
	v_add_f32_e32 v13, v13, v14
	s_wait_alu 0xfffe
	s_delay_alu instid0(VALU_DEP_1) | instskip(SKIP_1) | instid1(VALU_DEP_2)
	v_div_scale_f32 v14, null, s7, s7, v13
	v_div_scale_f32 v17, vcc_lo, v13, s7, v13
	v_rcp_f32_e32 v15, v14
	s_delay_alu instid0(TRANS32_DEP_1) | instskip(NEXT) | instid1(VALU_DEP_1)
	v_fma_f32 v16, -v14, v15, 1.0
	v_fmac_f32_e32 v15, v16, v15
	s_delay_alu instid0(VALU_DEP_1) | instskip(NEXT) | instid1(VALU_DEP_1)
	v_mul_f32_e32 v16, v17, v15
	v_fma_f32 v18, -v14, v16, v17
	s_delay_alu instid0(VALU_DEP_1) | instskip(NEXT) | instid1(VALU_DEP_1)
	v_fmac_f32_e32 v16, v18, v15
	v_fma_f32 v14, -v14, v16, v17
	s_wait_alu 0xfffd
	s_delay_alu instid0(VALU_DEP_1) | instskip(NEXT) | instid1(VALU_DEP_1)
	v_div_fmas_f32 v14, v14, v15, v16
	v_div_fixup_f32 v13, v14, s7, v13
	v_mov_b32_e32 v14, 0
	ds_store_b32 v14, v13 offset:68
.LBB19_10:
	s_wait_alu 0xfffe
	s_or_b32 exec_lo, exec_lo, s13
	s_and_b32 s6, 0xffff, s6
	s_wait_alu 0xfffe
	v_dual_mov_b32 v13, 0 :: v_dual_add_nc_u32 v0, s6, v0
	s_wait_loadcnt_dscnt 0x0
	s_barrier_signal -1
	s_barrier_wait -1
	global_inv scope:SCOPE_SE
	s_and_saveexec_b32 s13, s2
	s_cbranch_execz .LBB19_12
; %bb.11:
	v_mov_b32_e32 v13, 0
	v_cmp_gt_u32_e32 vcc_lo, s11, v0
	ds_load_b32 v13, v13 offset:68
	s_wait_dscnt 0x0
	v_sub_f32_e32 v14, v3, v13
	v_sub_f32_e32 v13, v2, v13
	s_delay_alu instid0(VALU_DEP_2) | instskip(NEXT) | instid1(VALU_DEP_1)
	v_mul_f32_e32 v14, v14, v14
	v_fma_f32 v13, v13, v13, v14
	s_wait_alu 0xfffd
	s_delay_alu instid0(VALU_DEP_1)
	v_cndmask_b32_e32 v13, v14, v13, vcc_lo
.LBB19_12:
	s_wait_alu 0xfffe
	s_or_b32 exec_lo, exec_lo, s13
	ds_bpermute_b32 v14, v4, v13
	s_wait_dscnt 0x0
	v_add_f32_e32 v13, v13, v14
	ds_bpermute_b32 v14, v5, v13
	s_wait_dscnt 0x0
	v_add_f32_e32 v13, v13, v14
	;; [unrolled: 3-line block ×5, first 2 shown]
	ds_bpermute_b32 v14, v10, v13
	s_and_saveexec_b32 s13, s3
	s_cbranch_execz .LBB19_14
; %bb.13:
	s_wait_dscnt 0x0
	v_add_f32_e32 v13, v13, v14
	ds_store_b32 v11, v13
.LBB19_14:
	s_wait_alu 0xfffe
	s_or_b32 exec_lo, exec_lo, s13
	v_mov_b32_e32 v11, 0
	s_wait_loadcnt_dscnt 0x0
	s_barrier_signal -1
	s_barrier_wait -1
	global_inv scope:SCOPE_SE
	s_and_saveexec_b32 s3, s4
; %bb.15:
	ds_load_b32 v11, v12
; %bb.16:
	s_or_b32 exec_lo, exec_lo, s3
	s_wait_dscnt 0x0
	ds_bpermute_b32 v4, v4, v11
	s_wait_dscnt 0x0
	v_add_f32_e32 v4, v11, v4
	ds_bpermute_b32 v5, v5, v4
	s_wait_dscnt 0x0
	v_add_f32_e32 v4, v4, v5
	;; [unrolled: 3-line block ×5, first 2 shown]
	ds_bpermute_b32 v5, v10, v4
	s_and_saveexec_b32 s3, s5
	s_cbranch_execz .LBB19_18
; %bb.17:
	s_wait_dscnt 0x0
	v_add_f32_e32 v4, v4, v5
	s_delay_alu instid0(VALU_DEP_1) | instskip(SKIP_1) | instid1(VALU_DEP_2)
	v_div_scale_f32 v5, null, s7, s7, v4
	v_div_scale_f32 v9, vcc_lo, v4, s7, v4
	v_rcp_f32_e32 v6, v5
	s_delay_alu instid0(TRANS32_DEP_1) | instskip(NEXT) | instid1(VALU_DEP_1)
	v_fma_f32 v8, -v5, v6, 1.0
	v_fmac_f32_e32 v6, v8, v6
	s_delay_alu instid0(VALU_DEP_1) | instskip(NEXT) | instid1(VALU_DEP_1)
	v_mul_f32_e32 v8, v9, v6
	v_fma_f32 v10, -v5, v8, v9
	s_delay_alu instid0(VALU_DEP_1) | instskip(NEXT) | instid1(VALU_DEP_1)
	v_fmac_f32_e32 v8, v10, v6
	v_fma_f32 v5, -v5, v8, v9
	s_wait_alu 0xfffd
	s_delay_alu instid0(VALU_DEP_1) | instskip(NEXT) | instid1(VALU_DEP_1)
	v_div_fmas_f32 v5, v5, v6, v8
	v_div_fixup_f32 v4, v5, s7, v4
	s_delay_alu instid0(VALU_DEP_1)
	v_dual_mov_b32 v5, 0 :: v_dual_add_f32 v4, s10, v4
	ds_store_b32 v5, v4 offset:64
.LBB19_18:
	s_or_b32 exec_lo, exec_lo, s3
	s_wait_loadcnt_dscnt 0x0
	s_barrier_signal -1
	s_barrier_wait -1
	global_inv scope:SCOPE_SE
	s_and_saveexec_b32 s3, s2
	s_cbranch_execz .LBB19_21
; %bb.19:
	s_load_b128 s[0:3], s[0:1], 0x18
	v_mov_b32_e32 v4, 0
	s_wait_kmcnt 0x0
	s_clause 0x1
	global_load_u16 v8, v7, s[0:1]
	global_load_u16 v9, v7, s[2:3]
	ds_load_b64 v[5:6], v4 offset:64
	s_wait_dscnt 0x0
	v_readfirstlane_b32 s4, v5
	v_sub_f32_e32 v3, v3, v6
	s_cmp_lt_f32 s4, 0x800000
	s_mul_f32 s5, s4, 0x4b800000
	s_wait_alu 0xfffe
	s_delay_alu instid0(SALU_CYCLE_2) | instskip(SKIP_2) | instid1(TRANS32_DEP_1)
	s_cselect_b32 s4, s5, s4
	s_wait_alu 0xfffe
	v_s_rsq_f32 s4, s4
	s_mul_f32 s5, s4, 0x45800000
	s_wait_alu 0xfffe
	s_delay_alu instid0(SALU_CYCLE_2)
	s_cselect_b32 s4, s5, s4
	s_wait_alu 0xfffe
	v_mul_f32_e32 v3, s4, v3
	s_wait_loadcnt 0x1
	v_lshlrev_b32_e32 v5, 16, v8
	s_wait_loadcnt 0x0
	v_lshlrev_b32_e32 v10, 16, v9
	s_delay_alu instid0(VALU_DEP_1) | instskip(NEXT) | instid1(VALU_DEP_1)
	v_dual_fmac_f32 v10, v3, v5 :: v_dual_mov_b32 v3, v1
	v_bfe_u32 v5, v10, 16, 1
	s_delay_alu instid0(VALU_DEP_2) | instskip(SKIP_2) | instid1(VALU_DEP_4)
	v_lshlrev_b64_e32 v[8:9], 1, v[3:4]
	v_or_b32_e32 v1, 0x400000, v10
	v_cmp_u_f32_e32 vcc_lo, v10, v10
	v_add3_u32 v5, v5, v10, 0x7fff
	s_wait_alu 0xfffd
	s_delay_alu instid0(VALU_DEP_1)
	v_cndmask_b32_e32 v1, v5, v1, vcc_lo
	v_add_co_u32 v8, vcc_lo, s8, v8
	s_wait_alu 0xfffd
	v_add_co_ci_u32_e64 v9, null, s9, v9, vcc_lo
	v_cmp_gt_u32_e32 vcc_lo, s11, v0
	global_store_d16_hi_b16 v[8:9], v1, off
	s_and_b32 exec_lo, exec_lo, vcc_lo
	s_cbranch_execz .LBB19_21
; %bb.20:
	v_add_co_u32 v1, s0, s0, v7
	s_wait_alu 0xf1ff
	v_add_co_ci_u32_e64 v3, null, s1, 0, s0
	v_add_co_u32 v5, s0, s2, v7
	s_wait_alu 0xf1ff
	v_add_co_ci_u32_e64 v10, null, s3, 0, s0
	s_lshl_b32 s0, s6, 1
	s_wait_alu 0xfffe
	v_add_co_u32 v7, vcc_lo, v1, s0
	s_wait_alu 0xfffd
	v_add_co_ci_u32_e64 v8, null, 0, v3, vcc_lo
	v_add_co_u32 v9, vcc_lo, v5, s0
	s_wait_alu 0xfffd
	v_add_co_ci_u32_e64 v10, null, 0, v10, vcc_lo
	global_load_u16 v1, v[7:8], off
	global_load_u16 v3, v[9:10], off
	s_wait_loadcnt 0x1
	v_dual_sub_f32 v2, v2, v6 :: v_dual_lshlrev_b32 v1, 16, v1
	s_wait_loadcnt 0x0
	s_delay_alu instid0(VALU_DEP_1) | instskip(NEXT) | instid1(VALU_DEP_1)
	v_dual_mul_f32 v2, s4, v2 :: v_dual_lshlrev_b32 v5, 16, v3
	v_fmac_f32_e32 v5, v2, v1
	s_delay_alu instid0(VALU_DEP_1) | instskip(SKIP_2) | instid1(VALU_DEP_3)
	v_bfe_u32 v1, v5, 16, 1
	v_or_b32_e32 v2, 0x400000, v5
	v_cmp_u_f32_e32 vcc_lo, v5, v5
	v_add3_u32 v6, v1, v5, 0x7fff
	s_wait_alu 0xfffd
	s_delay_alu instid0(VALU_DEP_1) | instskip(NEXT) | instid1(VALU_DEP_1)
	v_dual_cndmask_b32 v2, v6, v2 :: v_dual_add_nc_u32 v3, s12, v0
	v_lshlrev_b64_e32 v[0:1], 1, v[3:4]
	s_delay_alu instid0(VALU_DEP_1) | instskip(SKIP_1) | instid1(VALU_DEP_2)
	v_add_co_u32 v0, vcc_lo, s8, v0
	s_wait_alu 0xfffd
	v_add_co_ci_u32_e64 v1, null, s9, v1, vcc_lo
	global_store_d16_hi_b16 v[0:1], v2, off
.LBB19_21:
	s_endpgm
	.section	.rodata,"a",@progbits
	.p2align	6, 0x0
	.amdhsa_kernel _Z28addBiasResidualPostLayerNormI14__hip_bfloat16Li2ELi64EEvPT_PKS1_S4_S4_S4_fi
		.amdhsa_group_segment_fixed_size 72
		.amdhsa_private_segment_fixed_size 0
		.amdhsa_kernarg_size 304
		.amdhsa_user_sgpr_count 2
		.amdhsa_user_sgpr_dispatch_ptr 0
		.amdhsa_user_sgpr_queue_ptr 0
		.amdhsa_user_sgpr_kernarg_segment_ptr 1
		.amdhsa_user_sgpr_dispatch_id 0
		.amdhsa_user_sgpr_private_segment_size 0
		.amdhsa_wavefront_size32 1
		.amdhsa_uses_dynamic_stack 0
		.amdhsa_enable_private_segment 0
		.amdhsa_system_sgpr_workgroup_id_x 1
		.amdhsa_system_sgpr_workgroup_id_y 0
		.amdhsa_system_sgpr_workgroup_id_z 0
		.amdhsa_system_sgpr_workgroup_info 0
		.amdhsa_system_vgpr_workitem_id 0
		.amdhsa_next_free_vgpr 19
		.amdhsa_next_free_sgpr 15
		.amdhsa_reserve_vcc 1
		.amdhsa_float_round_mode_32 0
		.amdhsa_float_round_mode_16_64 0
		.amdhsa_float_denorm_mode_32 3
		.amdhsa_float_denorm_mode_16_64 3
		.amdhsa_fp16_overflow 0
		.amdhsa_workgroup_processor_mode 1
		.amdhsa_memory_ordered 1
		.amdhsa_forward_progress 1
		.amdhsa_inst_pref_size 18
		.amdhsa_round_robin_scheduling 0
		.amdhsa_exception_fp_ieee_invalid_op 0
		.amdhsa_exception_fp_denorm_src 0
		.amdhsa_exception_fp_ieee_div_zero 0
		.amdhsa_exception_fp_ieee_overflow 0
		.amdhsa_exception_fp_ieee_underflow 0
		.amdhsa_exception_fp_ieee_inexact 0
		.amdhsa_exception_int_div_zero 0
	.end_amdhsa_kernel
	.section	.text._Z28addBiasResidualPostLayerNormI14__hip_bfloat16Li2ELi64EEvPT_PKS1_S4_S4_S4_fi,"axG",@progbits,_Z28addBiasResidualPostLayerNormI14__hip_bfloat16Li2ELi64EEvPT_PKS1_S4_S4_S4_fi,comdat
.Lfunc_end19:
	.size	_Z28addBiasResidualPostLayerNormI14__hip_bfloat16Li2ELi64EEvPT_PKS1_S4_S4_S4_fi, .Lfunc_end19-_Z28addBiasResidualPostLayerNormI14__hip_bfloat16Li2ELi64EEvPT_PKS1_S4_S4_S4_fi
                                        ; -- End function
	.set _Z28addBiasResidualPostLayerNormI14__hip_bfloat16Li2ELi64EEvPT_PKS1_S4_S4_S4_fi.num_vgpr, 19
	.set _Z28addBiasResidualPostLayerNormI14__hip_bfloat16Li2ELi64EEvPT_PKS1_S4_S4_S4_fi.num_agpr, 0
	.set _Z28addBiasResidualPostLayerNormI14__hip_bfloat16Li2ELi64EEvPT_PKS1_S4_S4_S4_fi.numbered_sgpr, 15
	.set _Z28addBiasResidualPostLayerNormI14__hip_bfloat16Li2ELi64EEvPT_PKS1_S4_S4_S4_fi.num_named_barrier, 0
	.set _Z28addBiasResidualPostLayerNormI14__hip_bfloat16Li2ELi64EEvPT_PKS1_S4_S4_S4_fi.private_seg_size, 0
	.set _Z28addBiasResidualPostLayerNormI14__hip_bfloat16Li2ELi64EEvPT_PKS1_S4_S4_S4_fi.uses_vcc, 1
	.set _Z28addBiasResidualPostLayerNormI14__hip_bfloat16Li2ELi64EEvPT_PKS1_S4_S4_S4_fi.uses_flat_scratch, 0
	.set _Z28addBiasResidualPostLayerNormI14__hip_bfloat16Li2ELi64EEvPT_PKS1_S4_S4_S4_fi.has_dyn_sized_stack, 0
	.set _Z28addBiasResidualPostLayerNormI14__hip_bfloat16Li2ELi64EEvPT_PKS1_S4_S4_S4_fi.has_recursion, 0
	.set _Z28addBiasResidualPostLayerNormI14__hip_bfloat16Li2ELi64EEvPT_PKS1_S4_S4_S4_fi.has_indirect_call, 0
	.section	.AMDGPU.csdata,"",@progbits
; Kernel info:
; codeLenInByte = 2304
; TotalNumSgprs: 17
; NumVgprs: 19
; ScratchSize: 0
; MemoryBound: 0
; FloatMode: 240
; IeeeMode: 1
; LDSByteSize: 72 bytes/workgroup (compile time only)
; SGPRBlocks: 0
; VGPRBlocks: 2
; NumSGPRsForWavesPerEU: 17
; NumVGPRsForWavesPerEU: 19
; Occupancy: 16
; WaveLimiterHint : 0
; COMPUTE_PGM_RSRC2:SCRATCH_EN: 0
; COMPUTE_PGM_RSRC2:USER_SGPR: 2
; COMPUTE_PGM_RSRC2:TRAP_HANDLER: 0
; COMPUTE_PGM_RSRC2:TGID_X_EN: 1
; COMPUTE_PGM_RSRC2:TGID_Y_EN: 0
; COMPUTE_PGM_RSRC2:TGID_Z_EN: 0
; COMPUTE_PGM_RSRC2:TIDIG_COMP_CNT: 0
	.section	.text._Z35generalAddBiasResidualPostLayerNormI14__hip_bfloat16Li64EEvPT_PKS1_S4_S4_S4_fi,"axG",@progbits,_Z35generalAddBiasResidualPostLayerNormI14__hip_bfloat16Li64EEvPT_PKS1_S4_S4_S4_fi,comdat
	.protected	_Z35generalAddBiasResidualPostLayerNormI14__hip_bfloat16Li64EEvPT_PKS1_S4_S4_S4_fi ; -- Begin function _Z35generalAddBiasResidualPostLayerNormI14__hip_bfloat16Li64EEvPT_PKS1_S4_S4_S4_fi
	.globl	_Z35generalAddBiasResidualPostLayerNormI14__hip_bfloat16Li64EEvPT_PKS1_S4_S4_S4_fi
	.p2align	8
	.type	_Z35generalAddBiasResidualPostLayerNormI14__hip_bfloat16Li64EEvPT_PKS1_S4_S4_S4_fi,@function
_Z35generalAddBiasResidualPostLayerNormI14__hip_bfloat16Li64EEvPT_PKS1_S4_S4_S4_fi: ; @_Z35generalAddBiasResidualPostLayerNormI14__hip_bfloat16Li64EEvPT_PKS1_S4_S4_S4_fi
; %bb.0:
	s_clause 0x2
	s_load_b64 s[14:15], s[0:1], 0x28
	s_load_b64 s[12:13], s[0:1], 0x0
	s_load_b128 s[4:7], s[0:1], 0x18
	v_dual_mov_b32 v4, 0 :: v_dual_lshlrev_b32 v3, 2, v0
	s_wait_kmcnt 0x0
	s_lshr_b32 s2, s15, 31
	s_mul_i32 s17, s15, ttmp9
	s_add_co_i32 s2, s15, s2
	s_delay_alu instid0(SALU_CYCLE_1) | instskip(NEXT) | instid1(SALU_CYCLE_1)
	s_ashr_i32 s16, s2, 1
	v_cmp_gt_i32_e64 s2, s16, v0
	s_and_saveexec_b32 s18, s2
	s_cbranch_execz .LBB20_4
; %bb.1:
	s_clause 0x1
	s_load_b128 s[8:11], s[0:1], 0x8
	s_load_b32 s3, s[0:1], 0x3c
	v_dual_mov_b32 v4, 0 :: v_dual_mov_b32 v5, v0
	s_lshr_b32 s19, s17, 1
	s_wait_kmcnt 0x0
	v_add_co_u32 v1, s10, s10, v3
	s_wait_alu 0xf1ff
	v_add_co_ci_u32_e64 v2, null, s11, 0, s10
	s_and_b32 s11, s3, 0xffff
	s_mov_b32 s10, 0
	s_wait_alu 0xfffe
	s_lshl_b32 s20, s11, 2
.LBB20_2:                               ; =>This Inner Loop Header: Depth=1
	v_add_nc_u32_e32 v6, s19, v5
	s_delay_alu instid0(VALU_DEP_1) | instskip(NEXT) | instid1(VALU_DEP_1)
	v_ashrrev_i32_e32 v7, 31, v6
	v_lshlrev_b64_e32 v[6:7], 2, v[6:7]
	s_delay_alu instid0(VALU_DEP_1) | instskip(SKIP_1) | instid1(VALU_DEP_2)
	v_add_co_u32 v8, vcc_lo, s8, v6
	s_wait_alu 0xfffd
	v_add_co_ci_u32_e64 v9, null, s9, v7, vcc_lo
	v_add_co_u32 v6, vcc_lo, s12, v6
	s_wait_alu 0xfffd
	v_add_co_ci_u32_e64 v7, null, s13, v7, vcc_lo
	global_load_b32 v8, v[8:9], off
	global_load_b32 v9, v[6:7], off
	;; [unrolled: 1-line block ×3, first 2 shown]
	s_wait_loadcnt 0x2
	v_lshlrev_b32_e32 v11, 16, v8
	s_wait_loadcnt 0x1
	v_lshlrev_b32_e32 v12, 16, v9
	v_and_b32_e32 v9, 0xffff0000, v9
	s_delay_alu instid0(VALU_DEP_2) | instskip(NEXT) | instid1(VALU_DEP_1)
	v_add_f32_e32 v11, v12, v11
	v_or_b32_e32 v13, 0x400000, v11
	v_cmp_u_f32_e32 vcc_lo, v11, v11
	v_and_b32_e32 v8, 0xffff0000, v8
	s_delay_alu instid0(VALU_DEP_1) | instskip(SKIP_1) | instid1(VALU_DEP_1)
	v_add_f32_e32 v8, v9, v8
	v_bfe_u32 v9, v11, 16, 1
	v_add3_u32 v9, v9, v11, 0x7fff
	s_wait_loadcnt 0x0
	v_lshlrev_b32_e32 v11, 16, v10
	v_bfe_u32 v12, v8, 16, 1
	v_or_b32_e32 v14, 0x400000, v8
	s_wait_alu 0xfffd
	v_dual_cndmask_b32 v9, v9, v13 :: v_dual_and_b32 v10, 0xffff0000, v10
	v_cmp_u_f32_e32 vcc_lo, v8, v8
	v_add3_u32 v12, v12, v8, 0x7fff
	s_wait_alu 0xfffd
	s_delay_alu instid0(VALU_DEP_1) | instskip(NEXT) | instid1(VALU_DEP_1)
	v_dual_cndmask_b32 v8, v12, v14 :: v_dual_and_b32 v9, 0xffff0000, v9
	v_dual_add_f32 v9, v9, v11 :: v_dual_and_b32 v8, 0xffff0000, v8
	s_delay_alu instid0(VALU_DEP_1) | instskip(SKIP_1) | instid1(VALU_DEP_3)
	v_or_b32_e32 v12, 0x400000, v9
	v_cmp_u_f32_e32 vcc_lo, v9, v9
	v_add_f32_e32 v8, v8, v10
	v_bfe_u32 v10, v9, 16, 1
	s_delay_alu instid0(VALU_DEP_2) | instskip(NEXT) | instid1(VALU_DEP_2)
	v_bfe_u32 v11, v8, 16, 1
	v_add3_u32 v10, v10, v9, 0x7fff
	v_or_b32_e32 v13, 0x400000, v8
	s_delay_alu instid0(VALU_DEP_3) | instskip(SKIP_1) | instid1(VALU_DEP_3)
	v_add3_u32 v11, v11, v8, 0x7fff
	s_wait_alu 0xfffd
	v_cndmask_b32_e32 v9, v10, v12, vcc_lo
	v_cmp_u_f32_e32 vcc_lo, v8, v8
	s_wait_alu 0xfffd
	v_cndmask_b32_e32 v8, v11, v13, vcc_lo
	s_delay_alu instid0(VALU_DEP_3) | instskip(SKIP_3) | instid1(VALU_DEP_3)
	v_and_b32_e32 v10, 0xffff0000, v9
	v_add_co_u32 v1, vcc_lo, v1, s20
	s_wait_alu 0xfffd
	v_add_co_ci_u32_e64 v2, null, 0, v2, vcc_lo
	v_dual_add_f32 v4, v4, v10 :: v_dual_and_b32 v11, 0xffff0000, v8
	v_add_nc_u32_e32 v5, s11, v5
	v_perm_b32 v8, v8, v9, 0x7060302
	s_delay_alu instid0(VALU_DEP_3) | instskip(NEXT) | instid1(VALU_DEP_3)
	v_add_f32_e32 v4, v4, v11
	v_cmp_le_i32_e64 s3, s16, v5
	global_store_b32 v[6:7], v8, off
	s_or_b32 s10, s3, s10
	s_wait_alu 0xfffe
	s_and_not1_b32 exec_lo, exec_lo, s10
	s_cbranch_execnz .LBB20_2
; %bb.3:
	s_or_b32 exec_lo, exec_lo, s10
.LBB20_4:
	s_delay_alu instid0(SALU_CYCLE_1) | instskip(SKIP_1) | instid1(VALU_DEP_1)
	s_or_b32 exec_lo, exec_lo, s18
	v_mbcnt_lo_u32_b32 v7, -1, 0
	v_or_b32_e32 v1, 32, v7
	v_xor_b32_e32 v2, 16, v7
	v_xor_b32_e32 v10, 1, v7
	s_delay_alu instid0(VALU_DEP_3)
	v_cmp_gt_i32_e32 vcc_lo, 64, v1
	s_wait_alu 0xfffd
	v_cndmask_b32_e32 v1, v7, v1, vcc_lo
	v_cmp_gt_i32_e32 vcc_lo, 64, v2
	s_wait_alu 0xfffd
	v_cndmask_b32_e32 v2, v7, v2, vcc_lo
	s_delay_alu instid0(VALU_DEP_1)
	v_lshlrev_b32_e32 v2, 2, v2
	v_lshlrev_b32_e32 v1, 2, v1
	ds_bpermute_b32 v5, v1, v4
	s_wait_dscnt 0x0
	v_add_f32_e32 v5, v4, v5
	v_xor_b32_e32 v4, 8, v7
	ds_bpermute_b32 v6, v2, v5
	v_cmp_gt_i32_e32 vcc_lo, 64, v4
	s_wait_alu 0xfffd
	v_cndmask_b32_e32 v4, v7, v4, vcc_lo
	s_wait_dscnt 0x0
	v_add_f32_e32 v6, v5, v6
	v_xor_b32_e32 v5, 4, v7
	s_delay_alu instid0(VALU_DEP_1) | instskip(SKIP_2) | instid1(VALU_DEP_1)
	v_cmp_gt_i32_e32 vcc_lo, 64, v5
	s_wait_alu 0xfffd
	v_dual_cndmask_b32 v5, v7, v5 :: v_dual_lshlrev_b32 v4, 2, v4
	v_lshlrev_b32_e32 v5, 2, v5
	ds_bpermute_b32 v8, v4, v6
	s_wait_dscnt 0x0
	v_add_f32_e32 v8, v6, v8
	v_xor_b32_e32 v6, 2, v7
	s_delay_alu instid0(VALU_DEP_1)
	v_cmp_gt_i32_e32 vcc_lo, 64, v6
	s_wait_alu 0xfffd
	v_cndmask_b32_e32 v6, v7, v6, vcc_lo
	v_cmp_gt_i32_e32 vcc_lo, 64, v10
	s_wait_alu 0xfffd
	v_cndmask_b32_e32 v7, v7, v10, vcc_lo
	ds_bpermute_b32 v9, v5, v8
	v_lshlrev_b32_e32 v7, 2, v7
	v_lshlrev_b32_e32 v6, 2, v6
	s_wait_dscnt 0x0
	v_add_f32_e32 v8, v8, v9
	ds_bpermute_b32 v9, v6, v8
	s_wait_dscnt 0x0
	v_dual_add_f32 v10, v8, v9 :: v_dual_and_b32 v9, 63, v0
	v_lshrrev_b32_e32 v8, 4, v0
	ds_bpermute_b32 v11, v7, v10
	v_cmp_eq_u32_e64 s3, 0, v9
	s_and_saveexec_b32 s8, s3
	s_cbranch_execz .LBB20_6
; %bb.5:
	s_wait_dscnt 0x0
	v_add_f32_e32 v10, v10, v11
	ds_store_b32 v8, v10
.LBB20_6:
	s_wait_alu 0xfffe
	s_or_b32 exec_lo, exec_lo, s8
	s_wait_storecnt_dscnt 0x0
	s_barrier_signal -1
	s_barrier_wait -1
	global_inv scope:SCOPE_SE
	s_load_b32 s8, s[0:1], 0x3c
	v_dual_mov_b32 v10, 0 :: v_dual_lshlrev_b32 v9, 2, v9
	s_wait_kmcnt 0x0
	s_bfe_u32 s0, s8, 0xa0006
	s_delay_alu instid0(SALU_CYCLE_1)
	v_cmp_gt_u32_e64 s0, s0, v0
	s_and_saveexec_b32 s1, s0
; %bb.7:
	ds_load_b32 v10, v9
; %bb.8:
	s_wait_alu 0xfffe
	s_or_b32 exec_lo, exec_lo, s1
	s_wait_dscnt 0x0
	ds_bpermute_b32 v11, v1, v10
	v_cmp_eq_u32_e64 s1, 0, v0
	s_cvt_f32_i32 s9, s15
	s_wait_dscnt 0x0
	v_add_f32_e32 v10, v10, v11
	ds_bpermute_b32 v11, v2, v10
	s_wait_dscnt 0x0
	v_add_f32_e32 v10, v10, v11
	ds_bpermute_b32 v11, v4, v10
	;; [unrolled: 3-line block ×5, first 2 shown]
	s_and_saveexec_b32 s10, s1
	s_cbranch_execz .LBB20_10
; %bb.9:
	s_wait_dscnt 0x0
	v_add_f32_e32 v10, v10, v11
	s_wait_alu 0xfffe
	s_delay_alu instid0(VALU_DEP_1) | instskip(SKIP_1) | instid1(VALU_DEP_2)
	v_div_scale_f32 v11, null, s9, s9, v10
	v_div_scale_f32 v14, vcc_lo, v10, s9, v10
	v_rcp_f32_e32 v12, v11
	s_delay_alu instid0(TRANS32_DEP_1) | instskip(NEXT) | instid1(VALU_DEP_1)
	v_fma_f32 v13, -v11, v12, 1.0
	v_fmac_f32_e32 v12, v13, v12
	s_delay_alu instid0(VALU_DEP_1) | instskip(NEXT) | instid1(VALU_DEP_1)
	v_mul_f32_e32 v13, v14, v12
	v_fma_f32 v15, -v11, v13, v14
	s_delay_alu instid0(VALU_DEP_1) | instskip(NEXT) | instid1(VALU_DEP_1)
	v_fmac_f32_e32 v13, v15, v12
	v_fma_f32 v11, -v11, v13, v14
	s_wait_alu 0xfffd
	s_delay_alu instid0(VALU_DEP_1) | instskip(NEXT) | instid1(VALU_DEP_1)
	v_div_fmas_f32 v11, v11, v12, v13
	v_div_fixup_f32 v10, v11, s9, v10
	v_mov_b32_e32 v11, 0
	ds_store_b32 v11, v10 offset:68
.LBB20_10:
	s_wait_alu 0xfffe
	s_or_b32 exec_lo, exec_lo, s10
	v_mov_b32_e32 v10, 0
	s_and_b32 s8, 0xffff, s8
	s_wait_loadcnt_dscnt 0x0
	s_barrier_signal -1
	s_barrier_wait -1
	global_inv scope:SCOPE_SE
	s_and_saveexec_b32 s10, s2
	s_cbranch_execz .LBB20_14
; %bb.11:
	v_mov_b32_e32 v10, 0
	v_mov_b32_e32 v12, v0
	s_lshr_b32 s15, s17, 1
	s_mov_b32 s11, 0
	ds_load_b32 v11, v10 offset:68
.LBB20_12:                              ; =>This Inner Loop Header: Depth=1
	v_add_nc_u32_e32 v13, s15, v12
	s_wait_alu 0xfffe
	v_add_nc_u32_e32 v12, s8, v12
	s_delay_alu instid0(VALU_DEP_2) | instskip(NEXT) | instid1(VALU_DEP_1)
	v_ashrrev_i32_e32 v14, 31, v13
	v_lshlrev_b64_e32 v[13:14], 2, v[13:14]
	s_delay_alu instid0(VALU_DEP_1) | instskip(SKIP_1) | instid1(VALU_DEP_2)
	v_add_co_u32 v13, vcc_lo, s12, v13
	s_wait_alu 0xfffd
	v_add_co_ci_u32_e64 v14, null, s13, v14, vcc_lo
	v_cmp_le_i32_e32 vcc_lo, s16, v12
	global_load_b32 v13, v[13:14], off
	s_or_b32 s11, vcc_lo, s11
	s_wait_loadcnt 0x0
	v_lshlrev_b32_e32 v14, 16, v13
	v_and_b32_e32 v13, 0xffff0000, v13
	s_wait_dscnt 0x0
	s_delay_alu instid0(VALU_DEP_1) | instskip(NEXT) | instid1(VALU_DEP_3)
	v_sub_f32_e32 v13, v13, v11
	v_sub_f32_e32 v14, v14, v11
	s_delay_alu instid0(VALU_DEP_1) | instskip(NEXT) | instid1(VALU_DEP_1)
	v_fmac_f32_e32 v10, v14, v14
	v_fmac_f32_e32 v10, v13, v13
	s_wait_alu 0xfffe
	s_and_not1_b32 exec_lo, exec_lo, s11
	s_cbranch_execnz .LBB20_12
; %bb.13:
	s_or_b32 exec_lo, exec_lo, s11
.LBB20_14:
	s_wait_alu 0xfffe
	s_or_b32 exec_lo, exec_lo, s10
	ds_bpermute_b32 v11, v1, v10
	s_wait_dscnt 0x0
	v_add_f32_e32 v10, v10, v11
	ds_bpermute_b32 v11, v2, v10
	s_wait_dscnt 0x0
	v_add_f32_e32 v10, v10, v11
	;; [unrolled: 3-line block ×5, first 2 shown]
	ds_bpermute_b32 v11, v7, v10
	s_and_saveexec_b32 s10, s3
	s_cbranch_execz .LBB20_16
; %bb.15:
	s_wait_dscnt 0x0
	v_add_f32_e32 v10, v10, v11
	ds_store_b32 v8, v10
.LBB20_16:
	s_wait_alu 0xfffe
	s_or_b32 exec_lo, exec_lo, s10
	v_mov_b32_e32 v8, 0
	s_wait_loadcnt_dscnt 0x0
	s_barrier_signal -1
	s_barrier_wait -1
	global_inv scope:SCOPE_SE
	s_and_saveexec_b32 s3, s0
; %bb.17:
	ds_load_b32 v8, v9
; %bb.18:
	s_or_b32 exec_lo, exec_lo, s3
	s_wait_dscnt 0x0
	ds_bpermute_b32 v1, v1, v8
	s_wait_dscnt 0x0
	v_add_f32_e32 v1, v8, v1
	ds_bpermute_b32 v2, v2, v1
	s_wait_dscnt 0x0
	v_add_f32_e32 v1, v1, v2
	;; [unrolled: 3-line block ×5, first 2 shown]
	ds_bpermute_b32 v2, v7, v1
	s_and_saveexec_b32 s0, s1
	s_cbranch_execz .LBB20_20
; %bb.19:
	s_wait_dscnt 0x0
	v_add_f32_e32 v1, v1, v2
	s_delay_alu instid0(VALU_DEP_1) | instskip(SKIP_1) | instid1(VALU_DEP_2)
	v_div_scale_f32 v2, null, s9, s9, v1
	v_div_scale_f32 v6, vcc_lo, v1, s9, v1
	v_rcp_f32_e32 v4, v2
	s_delay_alu instid0(TRANS32_DEP_1) | instskip(NEXT) | instid1(VALU_DEP_1)
	v_fma_f32 v5, -v2, v4, 1.0
	v_fmac_f32_e32 v4, v5, v4
	s_delay_alu instid0(VALU_DEP_1) | instskip(NEXT) | instid1(VALU_DEP_1)
	v_mul_f32_e32 v5, v6, v4
	v_fma_f32 v7, -v2, v5, v6
	s_delay_alu instid0(VALU_DEP_1) | instskip(NEXT) | instid1(VALU_DEP_1)
	v_fmac_f32_e32 v5, v7, v4
	v_fma_f32 v2, -v2, v5, v6
	s_wait_alu 0xfffd
	s_delay_alu instid0(VALU_DEP_1) | instskip(NEXT) | instid1(VALU_DEP_1)
	v_div_fmas_f32 v2, v2, v4, v5
	v_div_fixup_f32 v1, v2, s9, v1
	s_delay_alu instid0(VALU_DEP_1) | instskip(NEXT) | instid1(VALU_DEP_1)
	v_add_f32_e32 v1, s14, v1
	v_mul_f32_e32 v2, 0x4b800000, v1
	v_cmp_gt_f32_e32 vcc_lo, 0x800000, v1
	s_wait_alu 0xfffd
	s_delay_alu instid0(VALU_DEP_2) | instskip(NEXT) | instid1(VALU_DEP_1)
	v_cndmask_b32_e32 v1, v1, v2, vcc_lo
	v_rsq_f32_e32 v1, v1
	s_delay_alu instid0(TRANS32_DEP_1) | instskip(NEXT) | instid1(VALU_DEP_1)
	v_mul_f32_e32 v2, 0x45800000, v1
	v_dual_cndmask_b32 v1, v1, v2 :: v_dual_mov_b32 v2, 0
	ds_store_b32 v2, v1 offset:64
.LBB20_20:
	s_wait_alu 0xfffe
	s_or_b32 exec_lo, exec_lo, s0
	s_wait_loadcnt_dscnt 0x0
	s_barrier_signal -1
	s_barrier_wait -1
	global_inv scope:SCOPE_SE
	s_and_saveexec_b32 s0, s2
	s_cbranch_execz .LBB20_23
; %bb.21:
	v_mov_b32_e32 v4, 0
	s_lshr_b32 s1, s17, 1
	s_mov_b32 s2, 0
	s_lshl_b32 s3, s8, 2
	ds_load_b64 v[1:2], v4 offset:64
.LBB20_22:                              ; =>This Inner Loop Header: Depth=1
	s_wait_alu 0xfffe
	v_add_nc_u32_e32 v5, s1, v0
	v_add_co_u32 v7, vcc_lo, s4, v3
	s_wait_alu 0xfffd
	v_add_co_ci_u32_e64 v8, null, s5, v4, vcc_lo
	s_delay_alu instid0(VALU_DEP_3) | instskip(SKIP_3) | instid1(VALU_DEP_3)
	v_ashrrev_i32_e32 v6, 31, v5
	v_add_co_u32 v9, vcc_lo, s6, v3
	s_wait_alu 0xfffd
	v_add_co_ci_u32_e64 v10, null, s7, v4, vcc_lo
	v_lshlrev_b64_e32 v[5:6], 2, v[5:6]
	v_add_nc_u32_e32 v0, s8, v0
	s_delay_alu instid0(VALU_DEP_2) | instskip(SKIP_1) | instid1(VALU_DEP_3)
	v_add_co_u32 v5, s0, s12, v5
	s_wait_alu 0xf1ff
	v_add_co_ci_u32_e64 v6, null, s13, v6, s0
	global_load_b32 v11, v[5:6], off
	global_load_b32 v7, v[7:8], off
	;; [unrolled: 1-line block ×3, first 2 shown]
	s_wait_loadcnt 0x2
	v_and_b32_e32 v10, 0xffff0000, v11
	s_wait_dscnt 0x0
	s_delay_alu instid0(VALU_DEP_1) | instskip(SKIP_2) | instid1(VALU_DEP_2)
	v_dual_sub_f32 v10, v10, v2 :: v_dual_lshlrev_b32 v9, 16, v11
	s_wait_loadcnt 0x1
	v_lshlrev_b32_e32 v11, 16, v7
	v_dual_mul_f32 v10, v10, v1 :: v_dual_and_b32 v7, 0xffff0000, v7
	s_wait_loadcnt 0x0
	v_dual_sub_f32 v9, v9, v2 :: v_dual_lshlrev_b32 v12, 16, v8
	s_delay_alu instid0(VALU_DEP_1) | instskip(NEXT) | instid1(VALU_DEP_1)
	v_dual_mul_f32 v9, v9, v1 :: v_dual_and_b32 v8, 0xffff0000, v8
	v_fmac_f32_e32 v8, v10, v7
	s_delay_alu instid0(VALU_DEP_2) | instskip(NEXT) | instid1(VALU_DEP_2)
	v_fmac_f32_e32 v12, v9, v11
	v_bfe_u32 v9, v8, 16, 1
	v_or_b32_e32 v11, 0x400000, v8
	v_cmp_u_f32_e32 vcc_lo, v8, v8
	s_delay_alu instid0(VALU_DEP_4) | instskip(SKIP_3) | instid1(VALU_DEP_4)
	v_bfe_u32 v7, v12, 16, 1
	v_or_b32_e32 v10, 0x400000, v12
	v_add3_u32 v9, v9, v8, 0x7fff
	v_cmp_u_f32_e64 s0, v12, v12
	v_add3_u32 v7, v7, v12, 0x7fff
	s_wait_alu 0xfffd
	s_delay_alu instid0(VALU_DEP_3)
	v_cndmask_b32_e32 v8, v9, v11, vcc_lo
	v_add_co_u32 v3, vcc_lo, v3, s3
	s_wait_alu 0xf1ff
	v_cndmask_b32_e64 v7, v7, v10, s0
	v_cmp_le_i32_e64 s0, s16, v0
	s_wait_alu 0xfffd
	v_add_co_ci_u32_e64 v4, null, 0, v4, vcc_lo
	s_delay_alu instid0(VALU_DEP_3) | instskip(NEXT) | instid1(VALU_DEP_3)
	v_perm_b32 v7, v8, v7, 0x7060302
	s_or_b32 s2, s0, s2
	global_store_b32 v[5:6], v7, off
	s_wait_alu 0xfffe
	s_and_not1_b32 exec_lo, exec_lo, s2
	s_cbranch_execnz .LBB20_22
.LBB20_23:
	s_endpgm
	.section	.rodata,"a",@progbits
	.p2align	6, 0x0
	.amdhsa_kernel _Z35generalAddBiasResidualPostLayerNormI14__hip_bfloat16Li64EEvPT_PKS1_S4_S4_S4_fi
		.amdhsa_group_segment_fixed_size 72
		.amdhsa_private_segment_fixed_size 0
		.amdhsa_kernarg_size 304
		.amdhsa_user_sgpr_count 2
		.amdhsa_user_sgpr_dispatch_ptr 0
		.amdhsa_user_sgpr_queue_ptr 0
		.amdhsa_user_sgpr_kernarg_segment_ptr 1
		.amdhsa_user_sgpr_dispatch_id 0
		.amdhsa_user_sgpr_private_segment_size 0
		.amdhsa_wavefront_size32 1
		.amdhsa_uses_dynamic_stack 0
		.amdhsa_enable_private_segment 0
		.amdhsa_system_sgpr_workgroup_id_x 1
		.amdhsa_system_sgpr_workgroup_id_y 0
		.amdhsa_system_sgpr_workgroup_id_z 0
		.amdhsa_system_sgpr_workgroup_info 0
		.amdhsa_system_vgpr_workitem_id 0
		.amdhsa_next_free_vgpr 16
		.amdhsa_next_free_sgpr 21
		.amdhsa_reserve_vcc 1
		.amdhsa_float_round_mode_32 0
		.amdhsa_float_round_mode_16_64 0
		.amdhsa_float_denorm_mode_32 3
		.amdhsa_float_denorm_mode_16_64 3
		.amdhsa_fp16_overflow 0
		.amdhsa_workgroup_processor_mode 1
		.amdhsa_memory_ordered 1
		.amdhsa_forward_progress 1
		.amdhsa_inst_pref_size 19
		.amdhsa_round_robin_scheduling 0
		.amdhsa_exception_fp_ieee_invalid_op 0
		.amdhsa_exception_fp_denorm_src 0
		.amdhsa_exception_fp_ieee_div_zero 0
		.amdhsa_exception_fp_ieee_overflow 0
		.amdhsa_exception_fp_ieee_underflow 0
		.amdhsa_exception_fp_ieee_inexact 0
		.amdhsa_exception_int_div_zero 0
	.end_amdhsa_kernel
	.section	.text._Z35generalAddBiasResidualPostLayerNormI14__hip_bfloat16Li64EEvPT_PKS1_S4_S4_S4_fi,"axG",@progbits,_Z35generalAddBiasResidualPostLayerNormI14__hip_bfloat16Li64EEvPT_PKS1_S4_S4_S4_fi,comdat
.Lfunc_end20:
	.size	_Z35generalAddBiasResidualPostLayerNormI14__hip_bfloat16Li64EEvPT_PKS1_S4_S4_S4_fi, .Lfunc_end20-_Z35generalAddBiasResidualPostLayerNormI14__hip_bfloat16Li64EEvPT_PKS1_S4_S4_S4_fi
                                        ; -- End function
	.set _Z35generalAddBiasResidualPostLayerNormI14__hip_bfloat16Li64EEvPT_PKS1_S4_S4_S4_fi.num_vgpr, 16
	.set _Z35generalAddBiasResidualPostLayerNormI14__hip_bfloat16Li64EEvPT_PKS1_S4_S4_S4_fi.num_agpr, 0
	.set _Z35generalAddBiasResidualPostLayerNormI14__hip_bfloat16Li64EEvPT_PKS1_S4_S4_S4_fi.numbered_sgpr, 21
	.set _Z35generalAddBiasResidualPostLayerNormI14__hip_bfloat16Li64EEvPT_PKS1_S4_S4_S4_fi.num_named_barrier, 0
	.set _Z35generalAddBiasResidualPostLayerNormI14__hip_bfloat16Li64EEvPT_PKS1_S4_S4_S4_fi.private_seg_size, 0
	.set _Z35generalAddBiasResidualPostLayerNormI14__hip_bfloat16Li64EEvPT_PKS1_S4_S4_S4_fi.uses_vcc, 1
	.set _Z35generalAddBiasResidualPostLayerNormI14__hip_bfloat16Li64EEvPT_PKS1_S4_S4_S4_fi.uses_flat_scratch, 0
	.set _Z35generalAddBiasResidualPostLayerNormI14__hip_bfloat16Li64EEvPT_PKS1_S4_S4_S4_fi.has_dyn_sized_stack, 0
	.set _Z35generalAddBiasResidualPostLayerNormI14__hip_bfloat16Li64EEvPT_PKS1_S4_S4_S4_fi.has_recursion, 0
	.set _Z35generalAddBiasResidualPostLayerNormI14__hip_bfloat16Li64EEvPT_PKS1_S4_S4_S4_fi.has_indirect_call, 0
	.section	.AMDGPU.csdata,"",@progbits
; Kernel info:
; codeLenInByte = 2320
; TotalNumSgprs: 23
; NumVgprs: 16
; ScratchSize: 0
; MemoryBound: 0
; FloatMode: 240
; IeeeMode: 1
; LDSByteSize: 72 bytes/workgroup (compile time only)
; SGPRBlocks: 0
; VGPRBlocks: 1
; NumSGPRsForWavesPerEU: 23
; NumVGPRsForWavesPerEU: 16
; Occupancy: 16
; WaveLimiterHint : 0
; COMPUTE_PGM_RSRC2:SCRATCH_EN: 0
; COMPUTE_PGM_RSRC2:USER_SGPR: 2
; COMPUTE_PGM_RSRC2:TRAP_HANDLER: 0
; COMPUTE_PGM_RSRC2:TGID_X_EN: 1
; COMPUTE_PGM_RSRC2:TGID_Y_EN: 0
; COMPUTE_PGM_RSRC2:TGID_Z_EN: 0
; COMPUTE_PGM_RSRC2:TIDIG_COMP_CNT: 0
	.section	.text._Z28addBiasResidualPostLayerNormI14__hip_bfloat16Li1ELi32EEvPT_PKS1_S4_S4_S4_fi,"axG",@progbits,_Z28addBiasResidualPostLayerNormI14__hip_bfloat16Li1ELi32EEvPT_PKS1_S4_S4_S4_fi,comdat
	.protected	_Z28addBiasResidualPostLayerNormI14__hip_bfloat16Li1ELi32EEvPT_PKS1_S4_S4_S4_fi ; -- Begin function _Z28addBiasResidualPostLayerNormI14__hip_bfloat16Li1ELi32EEvPT_PKS1_S4_S4_S4_fi
	.globl	_Z28addBiasResidualPostLayerNormI14__hip_bfloat16Li1ELi32EEvPT_PKS1_S4_S4_S4_fi
	.p2align	8
	.type	_Z28addBiasResidualPostLayerNormI14__hip_bfloat16Li1ELi32EEvPT_PKS1_S4_S4_S4_fi,@function
_Z28addBiasResidualPostLayerNormI14__hip_bfloat16Li1ELi32EEvPT_PKS1_S4_S4_S4_fi: ; @_Z28addBiasResidualPostLayerNormI14__hip_bfloat16Li1ELi32EEvPT_PKS1_S4_S4_S4_fi
; %bb.0:
	s_clause 0x1
	s_load_b64 s[8:9], s[0:1], 0x28
	s_load_b64 s[6:7], s[0:1], 0x0
	v_mov_b32_e32 v5, 0
	v_lshlrev_b32_e32 v1, 1, v0
                                        ; implicit-def: $vgpr2
	s_wait_kmcnt 0x0
	v_cmp_gt_i32_e64 s2, s9, v0
	s_and_saveexec_b32 s3, s2
	s_cbranch_execz .LBB21_2
; %bb.1:
	s_load_b128 s[12:15], s[0:1], 0x8
	v_mad_co_u64_u32 v[2:3], null, s9, ttmp9, v[0:1]
	v_mov_b32_e32 v3, 0
	s_delay_alu instid0(VALU_DEP_1) | instskip(NEXT) | instid1(VALU_DEP_3)
	v_mov_b32_e32 v8, v3
	v_lshlrev_b64_e32 v[4:5], 1, v[2:3]
	v_mov_b32_e32 v2, v3
	s_delay_alu instid0(VALU_DEP_2) | instskip(NEXT) | instid1(VALU_DEP_1)
	v_add_co_u32 v6, vcc_lo, s6, v4
	v_add_co_ci_u32_e64 v7, null, s7, v5, vcc_lo
	s_wait_kmcnt 0x0
	v_add_co_u32 v4, vcc_lo, s12, v4
	s_wait_alu 0xfffd
	v_add_co_ci_u32_e64 v5, null, s13, v5, vcc_lo
	global_load_d16_hi_b16 v2, v[6:7], off
	global_load_d16_hi_b16 v8, v[4:5], off
	global_load_d16_hi_b16 v3, v1, s[14:15]
	s_wait_loadcnt 0x1
	v_add_f32_e32 v2, v2, v8
	s_delay_alu instid0(VALU_DEP_1) | instskip(SKIP_2) | instid1(VALU_DEP_3)
	v_bfe_u32 v4, v2, 16, 1
	v_or_b32_e32 v5, 0x400000, v2
	v_cmp_u_f32_e32 vcc_lo, v2, v2
	v_add3_u32 v4, v4, v2, 0x7fff
	s_wait_alu 0xfffd
	s_delay_alu instid0(VALU_DEP_1) | instskip(NEXT) | instid1(VALU_DEP_1)
	v_cndmask_b32_e32 v2, v4, v5, vcc_lo
	v_and_b32_e32 v2, 0xffff0000, v2
	s_wait_loadcnt 0x0
	s_delay_alu instid0(VALU_DEP_1) | instskip(NEXT) | instid1(VALU_DEP_1)
	v_add_f32_e32 v2, v2, v3
	v_bfe_u32 v3, v2, 16, 1
	v_or_b32_e32 v4, 0x400000, v2
	v_cmp_u_f32_e32 vcc_lo, v2, v2
	s_delay_alu instid0(VALU_DEP_3) | instskip(SKIP_1) | instid1(VALU_DEP_1)
	v_add3_u32 v3, v3, v2, 0x7fff
	s_wait_alu 0xfffd
	v_cndmask_b32_e32 v2, v3, v4, vcc_lo
	s_delay_alu instid0(VALU_DEP_1) | instskip(NEXT) | instid1(VALU_DEP_1)
	v_and_b32_e32 v2, 0xffff0000, v2
	v_add_f32_e32 v5, 0, v2
.LBB21_2:
	s_or_b32 exec_lo, exec_lo, s3
	v_mbcnt_lo_u32_b32 v7, -1, 0
	s_delay_alu instid0(VALU_DEP_1) | instskip(SKIP_2) | instid1(VALU_DEP_3)
	v_xor_b32_e32 v3, 16, v7
	v_xor_b32_e32 v4, 8, v7
	;; [unrolled: 1-line block ×3, first 2 shown]
	v_cmp_gt_i32_e32 vcc_lo, 32, v3
	s_wait_alu 0xfffd
	v_cndmask_b32_e32 v3, v7, v3, vcc_lo
	v_cmp_gt_i32_e32 vcc_lo, 32, v4
	s_wait_alu 0xfffd
	v_cndmask_b32_e32 v4, v7, v4, vcc_lo
	s_delay_alu instid0(VALU_DEP_1)
	v_lshlrev_b32_e32 v4, 2, v4
	v_lshlrev_b32_e32 v3, 2, v3
	ds_bpermute_b32 v6, v3, v5
	s_wait_dscnt 0x0
	v_add_f32_e32 v6, v5, v6
	v_xor_b32_e32 v5, 4, v7
	ds_bpermute_b32 v8, v4, v6
	v_cmp_gt_i32_e32 vcc_lo, 32, v5
	s_wait_dscnt 0x0
	s_wait_alu 0xfffd
	v_dual_cndmask_b32 v5, v7, v5 :: v_dual_add_f32 v8, v6, v8
	s_delay_alu instid0(VALU_DEP_1)
	v_lshlrev_b32_e32 v5, 2, v5
	v_xor_b32_e32 v6, 2, v7
	ds_bpermute_b32 v9, v5, v8
	v_cmp_gt_i32_e32 vcc_lo, 32, v6
	s_wait_alu 0xfffd
	v_cndmask_b32_e32 v6, v7, v6, vcc_lo
	v_cmp_gt_i32_e32 vcc_lo, 32, v10
	s_wait_alu 0xfffd
	v_cndmask_b32_e32 v7, v7, v10, vcc_lo
	s_delay_alu instid0(VALU_DEP_1)
	v_lshlrev_b32_e32 v7, 2, v7
	v_lshlrev_b32_e32 v6, 2, v6
	s_wait_dscnt 0x0
	v_add_f32_e32 v8, v8, v9
	ds_bpermute_b32 v9, v6, v8
	s_wait_dscnt 0x0
	v_dual_add_f32 v10, v8, v9 :: v_dual_and_b32 v9, 31, v0
	v_lshrrev_b32_e32 v8, 3, v0
	ds_bpermute_b32 v11, v7, v10
	v_cmp_eq_u32_e64 s3, 0, v9
	s_and_saveexec_b32 s4, s3
	s_cbranch_execz .LBB21_4
; %bb.3:
	s_wait_dscnt 0x0
	v_add_f32_e32 v10, v10, v11
	ds_store_b32 v8, v10
.LBB21_4:
	s_or_b32 exec_lo, exec_lo, s4
	s_wait_dscnt 0x0
	s_barrier_signal -1
	s_barrier_wait -1
	global_inv scope:SCOPE_SE
	s_load_b32 s4, s[0:1], 0x3c
	v_dual_mov_b32 v10, 0 :: v_dual_lshlrev_b32 v9, 2, v9
	s_wait_kmcnt 0x0
	s_bfe_u32 s4, s4, 0xb0005
	s_delay_alu instid0(SALU_CYCLE_1)
	v_cmp_gt_u32_e64 s4, s4, v0
	s_and_saveexec_b32 s5, s4
; %bb.5:
	ds_load_b32 v10, v9
; %bb.6:
	s_wait_alu 0xfffe
	s_or_b32 exec_lo, exec_lo, s5
	s_wait_dscnt 0x0
	ds_bpermute_b32 v11, v3, v10
	v_cmp_eq_u32_e64 s5, 0, v0
	s_cvt_f32_i32 s10, s9
	s_wait_dscnt 0x0
	v_add_f32_e32 v10, v10, v11
	ds_bpermute_b32 v11, v4, v10
	s_wait_dscnt 0x0
	v_add_f32_e32 v10, v10, v11
	ds_bpermute_b32 v11, v5, v10
	;; [unrolled: 3-line block ×4, first 2 shown]
	s_and_saveexec_b32 s11, s5
	s_cbranch_execz .LBB21_8
; %bb.7:
	s_wait_dscnt 0x0
	v_add_f32_e32 v10, v10, v11
	s_delay_alu instid0(VALU_DEP_1) | instskip(SKIP_1) | instid1(VALU_DEP_2)
	v_div_scale_f32 v11, null, s10, s10, v10
	v_div_scale_f32 v14, vcc_lo, v10, s10, v10
	v_rcp_f32_e32 v12, v11
	s_delay_alu instid0(TRANS32_DEP_1) | instskip(NEXT) | instid1(VALU_DEP_1)
	v_fma_f32 v13, -v11, v12, 1.0
	v_fmac_f32_e32 v12, v13, v12
	s_delay_alu instid0(VALU_DEP_1) | instskip(NEXT) | instid1(VALU_DEP_1)
	v_mul_f32_e32 v13, v14, v12
	v_fma_f32 v15, -v11, v13, v14
	s_delay_alu instid0(VALU_DEP_1) | instskip(NEXT) | instid1(VALU_DEP_1)
	v_fmac_f32_e32 v13, v15, v12
	v_fma_f32 v11, -v11, v13, v14
	s_wait_alu 0xfffd
	s_delay_alu instid0(VALU_DEP_1) | instskip(NEXT) | instid1(VALU_DEP_1)
	v_div_fmas_f32 v11, v11, v12, v13
	v_div_fixup_f32 v10, v11, s10, v10
	v_mov_b32_e32 v11, 0
	ds_store_b32 v11, v10 offset:132
.LBB21_8:
	s_or_b32 exec_lo, exec_lo, s11
	v_mov_b32_e32 v10, 0
	s_wait_loadcnt_dscnt 0x0
	s_barrier_signal -1
	s_barrier_wait -1
	global_inv scope:SCOPE_SE
	ds_load_b32 v11, v10 offset:132
	s_wait_dscnt 0x0
	v_sub_f32_e32 v11, v2, v11
	s_delay_alu instid0(VALU_DEP_1) | instskip(NEXT) | instid1(VALU_DEP_1)
	v_mul_f32_e32 v11, v11, v11
	v_cndmask_b32_e64 v11, 0, v11, s2
	ds_bpermute_b32 v12, v3, v11
	s_wait_dscnt 0x0
	v_add_f32_e32 v11, v11, v12
	ds_bpermute_b32 v12, v4, v11
	s_wait_dscnt 0x0
	v_add_f32_e32 v11, v11, v12
	ds_bpermute_b32 v12, v5, v11
	s_wait_dscnt 0x0
	v_add_f32_e32 v11, v11, v12
	ds_bpermute_b32 v12, v6, v11
	s_wait_dscnt 0x0
	v_add_f32_e32 v11, v11, v12
	ds_bpermute_b32 v12, v7, v11
	s_and_saveexec_b32 s11, s3
	s_cbranch_execz .LBB21_10
; %bb.9:
	s_wait_dscnt 0x0
	v_add_f32_e32 v11, v11, v12
	ds_store_b32 v8, v11
.LBB21_10:
	s_wait_alu 0xfffe
	s_or_b32 exec_lo, exec_lo, s11
	s_wait_loadcnt_dscnt 0x0
	s_barrier_signal -1
	s_barrier_wait -1
	global_inv scope:SCOPE_SE
	s_and_saveexec_b32 s3, s4
; %bb.11:
	ds_load_b32 v10, v9
; %bb.12:
	s_wait_alu 0xfffe
	s_or_b32 exec_lo, exec_lo, s3
	s_wait_dscnt 0x0
	ds_bpermute_b32 v3, v3, v10
	s_wait_dscnt 0x0
	v_add_f32_e32 v3, v10, v3
	ds_bpermute_b32 v4, v4, v3
	s_wait_dscnt 0x0
	v_add_f32_e32 v3, v3, v4
	;; [unrolled: 3-line block ×4, first 2 shown]
	ds_bpermute_b32 v4, v7, v3
	s_and_saveexec_b32 s3, s5
	s_cbranch_execz .LBB21_14
; %bb.13:
	s_wait_dscnt 0x0
	v_add_f32_e32 v3, v3, v4
	s_delay_alu instid0(VALU_DEP_1) | instskip(SKIP_1) | instid1(VALU_DEP_2)
	v_div_scale_f32 v4, null, s10, s10, v3
	v_div_scale_f32 v7, vcc_lo, v3, s10, v3
	v_rcp_f32_e32 v5, v4
	s_delay_alu instid0(TRANS32_DEP_1) | instskip(NEXT) | instid1(VALU_DEP_1)
	v_fma_f32 v6, -v4, v5, 1.0
	v_fmac_f32_e32 v5, v6, v5
	s_delay_alu instid0(VALU_DEP_1) | instskip(NEXT) | instid1(VALU_DEP_1)
	v_mul_f32_e32 v6, v7, v5
	v_fma_f32 v8, -v4, v6, v7
	s_delay_alu instid0(VALU_DEP_1) | instskip(NEXT) | instid1(VALU_DEP_1)
	v_fmac_f32_e32 v6, v8, v5
	v_fma_f32 v4, -v4, v6, v7
	s_wait_alu 0xfffd
	s_delay_alu instid0(VALU_DEP_1) | instskip(NEXT) | instid1(VALU_DEP_1)
	v_div_fmas_f32 v4, v4, v5, v6
	v_div_fixup_f32 v3, v4, s10, v3
	s_delay_alu instid0(VALU_DEP_1)
	v_dual_mov_b32 v4, 0 :: v_dual_add_f32 v3, s8, v3
	ds_store_b32 v4, v3 offset:128
.LBB21_14:
	s_wait_alu 0xfffe
	s_or_b32 exec_lo, exec_lo, s3
	s_wait_loadcnt_dscnt 0x0
	s_barrier_signal -1
	s_barrier_wait -1
	global_inv scope:SCOPE_SE
	s_and_saveexec_b32 s3, s2
	s_cbranch_execz .LBB21_16
; %bb.15:
	s_load_b128 s[0:3], s[0:1], 0x18
	s_wait_kmcnt 0x0
	s_clause 0x1
	global_load_u16 v5, v1, s[0:1]
	global_load_u16 v1, v1, s[2:3]
	v_mov_b32_e32 v6, 0
	ds_load_b64 v[3:4], v6 offset:128
	s_wait_dscnt 0x0
	v_readfirstlane_b32 s0, v3
	v_sub_f32_e32 v2, v2, v4
	s_cmp_lt_f32 s0, 0x800000
	s_mul_f32 s1, s0, 0x4b800000
	s_wait_alu 0xfffe
	s_delay_alu instid0(SALU_CYCLE_2) | instskip(SKIP_2) | instid1(TRANS32_DEP_1)
	s_cselect_b32 s0, s1, s0
	s_wait_alu 0xfffe
	v_s_rsq_f32 s0, s0
	s_mul_f32 s1, s0, 0x45800000
	s_wait_alu 0xfffe
	s_delay_alu instid0(SALU_CYCLE_2)
	s_cselect_b32 s0, s1, s0
	s_wait_loadcnt 0x1
	s_wait_alu 0xfffe
	v_dual_mul_f32 v2, s0, v2 :: v_dual_lshlrev_b32 v3, 16, v5
	s_wait_loadcnt 0x0
	v_lshlrev_b32_e32 v4, 16, v1
	v_mad_co_u64_u32 v[0:1], null, s9, ttmp9, v[0:1]
	v_mov_b32_e32 v1, v6
	s_delay_alu instid0(VALU_DEP_3) | instskip(NEXT) | instid1(VALU_DEP_2)
	v_fmac_f32_e32 v4, v2, v3
	v_lshlrev_b64_e32 v[0:1], 1, v[0:1]
	s_delay_alu instid0(VALU_DEP_2) | instskip(SKIP_2) | instid1(VALU_DEP_3)
	v_bfe_u32 v2, v4, 16, 1
	v_or_b32_e32 v3, 0x400000, v4
	v_cmp_u_f32_e32 vcc_lo, v4, v4
	v_add3_u32 v2, v2, v4, 0x7fff
	s_wait_alu 0xfffd
	s_delay_alu instid0(VALU_DEP_1)
	v_cndmask_b32_e32 v2, v2, v3, vcc_lo
	v_add_co_u32 v0, vcc_lo, s6, v0
	s_wait_alu 0xfffd
	v_add_co_ci_u32_e64 v1, null, s7, v1, vcc_lo
	global_store_d16_hi_b16 v[0:1], v2, off
.LBB21_16:
	s_endpgm
	.section	.rodata,"a",@progbits
	.p2align	6, 0x0
	.amdhsa_kernel _Z28addBiasResidualPostLayerNormI14__hip_bfloat16Li1ELi32EEvPT_PKS1_S4_S4_S4_fi
		.amdhsa_group_segment_fixed_size 136
		.amdhsa_private_segment_fixed_size 0
		.amdhsa_kernarg_size 304
		.amdhsa_user_sgpr_count 2
		.amdhsa_user_sgpr_dispatch_ptr 0
		.amdhsa_user_sgpr_queue_ptr 0
		.amdhsa_user_sgpr_kernarg_segment_ptr 1
		.amdhsa_user_sgpr_dispatch_id 0
		.amdhsa_user_sgpr_private_segment_size 0
		.amdhsa_wavefront_size32 1
		.amdhsa_uses_dynamic_stack 0
		.amdhsa_enable_private_segment 0
		.amdhsa_system_sgpr_workgroup_id_x 1
		.amdhsa_system_sgpr_workgroup_id_y 0
		.amdhsa_system_sgpr_workgroup_id_z 0
		.amdhsa_system_sgpr_workgroup_info 0
		.amdhsa_system_vgpr_workitem_id 0
		.amdhsa_next_free_vgpr 16
		.amdhsa_next_free_sgpr 16
		.amdhsa_reserve_vcc 1
		.amdhsa_float_round_mode_32 0
		.amdhsa_float_round_mode_16_64 0
		.amdhsa_float_denorm_mode_32 3
		.amdhsa_float_denorm_mode_16_64 3
		.amdhsa_fp16_overflow 0
		.amdhsa_workgroup_processor_mode 1
		.amdhsa_memory_ordered 1
		.amdhsa_forward_progress 1
		.amdhsa_inst_pref_size 13
		.amdhsa_round_robin_scheduling 0
		.amdhsa_exception_fp_ieee_invalid_op 0
		.amdhsa_exception_fp_denorm_src 0
		.amdhsa_exception_fp_ieee_div_zero 0
		.amdhsa_exception_fp_ieee_overflow 0
		.amdhsa_exception_fp_ieee_underflow 0
		.amdhsa_exception_fp_ieee_inexact 0
		.amdhsa_exception_int_div_zero 0
	.end_amdhsa_kernel
	.section	.text._Z28addBiasResidualPostLayerNormI14__hip_bfloat16Li1ELi32EEvPT_PKS1_S4_S4_S4_fi,"axG",@progbits,_Z28addBiasResidualPostLayerNormI14__hip_bfloat16Li1ELi32EEvPT_PKS1_S4_S4_S4_fi,comdat
.Lfunc_end21:
	.size	_Z28addBiasResidualPostLayerNormI14__hip_bfloat16Li1ELi32EEvPT_PKS1_S4_S4_S4_fi, .Lfunc_end21-_Z28addBiasResidualPostLayerNormI14__hip_bfloat16Li1ELi32EEvPT_PKS1_S4_S4_S4_fi
                                        ; -- End function
	.set _Z28addBiasResidualPostLayerNormI14__hip_bfloat16Li1ELi32EEvPT_PKS1_S4_S4_S4_fi.num_vgpr, 16
	.set _Z28addBiasResidualPostLayerNormI14__hip_bfloat16Li1ELi32EEvPT_PKS1_S4_S4_S4_fi.num_agpr, 0
	.set _Z28addBiasResidualPostLayerNormI14__hip_bfloat16Li1ELi32EEvPT_PKS1_S4_S4_S4_fi.numbered_sgpr, 16
	.set _Z28addBiasResidualPostLayerNormI14__hip_bfloat16Li1ELi32EEvPT_PKS1_S4_S4_S4_fi.num_named_barrier, 0
	.set _Z28addBiasResidualPostLayerNormI14__hip_bfloat16Li1ELi32EEvPT_PKS1_S4_S4_S4_fi.private_seg_size, 0
	.set _Z28addBiasResidualPostLayerNormI14__hip_bfloat16Li1ELi32EEvPT_PKS1_S4_S4_S4_fi.uses_vcc, 1
	.set _Z28addBiasResidualPostLayerNormI14__hip_bfloat16Li1ELi32EEvPT_PKS1_S4_S4_S4_fi.uses_flat_scratch, 0
	.set _Z28addBiasResidualPostLayerNormI14__hip_bfloat16Li1ELi32EEvPT_PKS1_S4_S4_S4_fi.has_dyn_sized_stack, 0
	.set _Z28addBiasResidualPostLayerNormI14__hip_bfloat16Li1ELi32EEvPT_PKS1_S4_S4_S4_fi.has_recursion, 0
	.set _Z28addBiasResidualPostLayerNormI14__hip_bfloat16Li1ELi32EEvPT_PKS1_S4_S4_S4_fi.has_indirect_call, 0
	.section	.AMDGPU.csdata,"",@progbits
; Kernel info:
; codeLenInByte = 1556
; TotalNumSgprs: 18
; NumVgprs: 16
; ScratchSize: 0
; MemoryBound: 0
; FloatMode: 240
; IeeeMode: 1
; LDSByteSize: 136 bytes/workgroup (compile time only)
; SGPRBlocks: 0
; VGPRBlocks: 1
; NumSGPRsForWavesPerEU: 18
; NumVGPRsForWavesPerEU: 16
; Occupancy: 16
; WaveLimiterHint : 0
; COMPUTE_PGM_RSRC2:SCRATCH_EN: 0
; COMPUTE_PGM_RSRC2:USER_SGPR: 2
; COMPUTE_PGM_RSRC2:TRAP_HANDLER: 0
; COMPUTE_PGM_RSRC2:TGID_X_EN: 1
; COMPUTE_PGM_RSRC2:TGID_Y_EN: 0
; COMPUTE_PGM_RSRC2:TGID_Z_EN: 0
; COMPUTE_PGM_RSRC2:TIDIG_COMP_CNT: 0
	.section	.text._Z28addBiasResidualPostLayerNormI14__hip_bfloat16Li2ELi32EEvPT_PKS1_S4_S4_S4_fi,"axG",@progbits,_Z28addBiasResidualPostLayerNormI14__hip_bfloat16Li2ELi32EEvPT_PKS1_S4_S4_S4_fi,comdat
	.protected	_Z28addBiasResidualPostLayerNormI14__hip_bfloat16Li2ELi32EEvPT_PKS1_S4_S4_S4_fi ; -- Begin function _Z28addBiasResidualPostLayerNormI14__hip_bfloat16Li2ELi32EEvPT_PKS1_S4_S4_S4_fi
	.globl	_Z28addBiasResidualPostLayerNormI14__hip_bfloat16Li2ELi32EEvPT_PKS1_S4_S4_S4_fi
	.p2align	8
	.type	_Z28addBiasResidualPostLayerNormI14__hip_bfloat16Li2ELi32EEvPT_PKS1_S4_S4_S4_fi,@function
_Z28addBiasResidualPostLayerNormI14__hip_bfloat16Li2ELi32EEvPT_PKS1_S4_S4_S4_fi: ; @_Z28addBiasResidualPostLayerNormI14__hip_bfloat16Li2ELi32EEvPT_PKS1_S4_S4_S4_fi
; %bb.0:
	s_clause 0x1
	s_load_b64 s[10:11], s[0:1], 0x28
	s_load_b64 s[8:9], s[0:1], 0x0
	v_dual_mov_b32 v6, 0 :: v_dual_mov_b32 v3, 0
	s_delay_alu instid0(VALU_DEP_1)
	v_dual_mov_b32 v2, v6 :: v_dual_lshlrev_b32 v7, 1, v0
	s_wait_kmcnt 0x0
	s_mul_i32 s12, s11, ttmp9
	v_cmp_gt_i32_e64 s2, s11, v0
	v_add_nc_u32_e32 v1, s12, v0
	s_and_saveexec_b32 s3, s2
	s_cbranch_execz .LBB22_4
; %bb.1:
	s_clause 0x1
	s_load_b128 s[4:7], s[0:1], 0x8
	s_load_b32 s13, s[0:1], 0x3c
	v_mov_b32_e32 v2, 0
	s_delay_alu instid0(VALU_DEP_1) | instskip(SKIP_1) | instid1(VALU_DEP_2)
	v_lshlrev_b64_e32 v[3:4], 1, v[1:2]
	v_dual_mov_b32 v8, v2 :: v_dual_mov_b32 v9, v2
	v_add_co_u32 v5, vcc_lo, s8, v3
	s_delay_alu instid0(VALU_DEP_1)
	v_add_co_ci_u32_e64 v6, null, s9, v4, vcc_lo
	s_wait_kmcnt 0x0
	v_add_co_u32 v3, vcc_lo, s4, v3
	s_wait_alu 0xfffd
	v_add_co_ci_u32_e64 v4, null, s5, v4, vcc_lo
	s_and_b32 s14, s13, 0xffff
	s_mov_b32 s13, exec_lo
	global_load_d16_hi_b16 v8, v[5:6], off
	global_load_d16_hi_b16 v9, v[3:4], off
	s_wait_loadcnt 0x0
	v_dual_mov_b32 v3, v2 :: v_dual_add_f32 v4, v8, v9
	global_load_d16_hi_b16 v3, v7, s[6:7]
	v_bfe_u32 v5, v4, 16, 1
	v_or_b32_e32 v6, 0x400000, v4
	v_cmp_u_f32_e32 vcc_lo, v4, v4
	s_delay_alu instid0(VALU_DEP_3) | instskip(SKIP_1) | instid1(VALU_DEP_1)
	v_add3_u32 v5, v5, v4, 0x7fff
	s_wait_alu 0xfffd
	v_cndmask_b32_e32 v4, v5, v6, vcc_lo
	s_delay_alu instid0(VALU_DEP_1) | instskip(SKIP_1) | instid1(VALU_DEP_1)
	v_and_b32_e32 v4, 0xffff0000, v4
	s_wait_loadcnt 0x0
	v_add_f32_e32 v3, v4, v3
	s_delay_alu instid0(VALU_DEP_1) | instskip(SKIP_2) | instid1(VALU_DEP_3)
	v_bfe_u32 v4, v3, 16, 1
	v_or_b32_e32 v5, 0x400000, v3
	v_cmp_u_f32_e32 vcc_lo, v3, v3
	v_add3_u32 v4, v4, v3, 0x7fff
	s_wait_alu 0xfffd
	s_delay_alu instid0(VALU_DEP_1) | instskip(NEXT) | instid1(VALU_DEP_1)
	v_dual_cndmask_b32 v3, v4, v5 :: v_dual_add_nc_u32 v4, s14, v0
	v_and_b32_e32 v3, 0xffff0000, v3
	s_delay_alu instid0(VALU_DEP_1) | instskip(NEXT) | instid1(VALU_DEP_3)
	v_add_f32_e32 v6, 0, v3
	v_cmpx_gt_u32_e64 s11, v4
	s_cbranch_execz .LBB22_3
; %bb.2:
	v_dual_mov_b32 v5, 0 :: v_dual_add_nc_u32 v4, s12, v4
	s_delay_alu instid0(VALU_DEP_1) | instskip(SKIP_2) | instid1(VALU_DEP_3)
	v_lshlrev_b64_e32 v[8:9], 1, v[4:5]
	v_mov_b32_e32 v2, v5
	v_mov_b32_e32 v4, v5
	v_add_co_u32 v10, vcc_lo, s8, v8
	s_wait_alu 0xfffd
	s_delay_alu instid0(VALU_DEP_4)
	v_add_co_ci_u32_e64 v11, null, s9, v9, vcc_lo
	v_add_co_u32 v8, vcc_lo, s4, v8
	s_wait_alu 0xfffd
	v_add_co_ci_u32_e64 v9, null, s5, v9, vcc_lo
	global_load_d16_hi_b16 v2, v[10:11], off
	global_load_d16_hi_b16 v4, v[8:9], off
	v_add_co_u32 v8, s4, s6, v7
	s_wait_alu 0xf1ff
	v_add_co_ci_u32_e64 v9, null, s7, 0, s4
	s_lshl_b32 s4, s14, 1
	s_wait_alu 0xfffe
	v_add_co_u32 v8, vcc_lo, v8, s4
	s_wait_alu 0xfffd
	v_add_co_ci_u32_e64 v9, null, 0, v9, vcc_lo
	global_load_d16_hi_b16 v5, v[8:9], off
	s_wait_loadcnt 0x1
	v_add_f32_e32 v2, v2, v4
	s_delay_alu instid0(VALU_DEP_1) | instskip(SKIP_2) | instid1(VALU_DEP_3)
	v_bfe_u32 v4, v2, 16, 1
	v_or_b32_e32 v8, 0x400000, v2
	v_cmp_u_f32_e32 vcc_lo, v2, v2
	v_add3_u32 v4, v4, v2, 0x7fff
	s_wait_alu 0xfffd
	s_delay_alu instid0(VALU_DEP_1) | instskip(NEXT) | instid1(VALU_DEP_1)
	v_cndmask_b32_e32 v2, v4, v8, vcc_lo
	v_and_b32_e32 v2, 0xffff0000, v2
	s_wait_loadcnt 0x0
	s_delay_alu instid0(VALU_DEP_1) | instskip(NEXT) | instid1(VALU_DEP_1)
	v_add_f32_e32 v2, v2, v5
	v_bfe_u32 v4, v2, 16, 1
	v_or_b32_e32 v5, 0x400000, v2
	v_cmp_u_f32_e32 vcc_lo, v2, v2
	s_delay_alu instid0(VALU_DEP_3) | instskip(SKIP_1) | instid1(VALU_DEP_1)
	v_add3_u32 v4, v4, v2, 0x7fff
	s_wait_alu 0xfffd
	v_cndmask_b32_e32 v2, v4, v5, vcc_lo
	s_delay_alu instid0(VALU_DEP_1) | instskip(NEXT) | instid1(VALU_DEP_1)
	v_and_b32_e32 v2, 0xffff0000, v2
	v_add_f32_e32 v6, v6, v2
.LBB22_3:
	s_wait_alu 0xfffe
	s_or_b32 exec_lo, exec_lo, s13
.LBB22_4:
	s_delay_alu instid0(SALU_CYCLE_1) | instskip(SKIP_1) | instid1(VALU_DEP_1)
	s_or_b32 exec_lo, exec_lo, s3
	v_mbcnt_lo_u32_b32 v9, -1, 0
	v_xor_b32_e32 v4, 16, v9
	v_xor_b32_e32 v5, 8, v9
	;; [unrolled: 1-line block ×3, first 2 shown]
	s_delay_alu instid0(VALU_DEP_3)
	v_cmp_gt_i32_e32 vcc_lo, 32, v4
	s_wait_alu 0xfffd
	v_cndmask_b32_e32 v4, v9, v4, vcc_lo
	v_cmp_gt_i32_e32 vcc_lo, 32, v5
	s_wait_alu 0xfffd
	v_cndmask_b32_e32 v5, v9, v5, vcc_lo
	s_delay_alu instid0(VALU_DEP_1)
	v_lshlrev_b32_e32 v5, 2, v5
	v_lshlrev_b32_e32 v4, 2, v4
	ds_bpermute_b32 v8, v4, v6
	s_wait_dscnt 0x0
	v_add_f32_e32 v8, v6, v8
	v_xor_b32_e32 v6, 4, v9
	ds_bpermute_b32 v10, v5, v8
	v_cmp_gt_i32_e32 vcc_lo, 32, v6
	s_wait_alu 0xfffd
	v_cndmask_b32_e32 v6, v9, v6, vcc_lo
	s_wait_dscnt 0x0
	v_add_f32_e32 v10, v8, v10
	v_xor_b32_e32 v8, 2, v9
	s_delay_alu instid0(VALU_DEP_1) | instskip(SKIP_3) | instid1(VALU_DEP_2)
	v_cmp_gt_i32_e32 vcc_lo, 32, v8
	s_wait_alu 0xfffd
	v_cndmask_b32_e32 v8, v9, v8, vcc_lo
	v_cmp_gt_i32_e32 vcc_lo, 32, v12
	v_lshlrev_b32_e32 v8, 2, v8
	s_wait_alu 0xfffd
	v_cndmask_b32_e32 v9, v9, v12, vcc_lo
	s_delay_alu instid0(VALU_DEP_1)
	v_lshlrev_b32_e32 v9, 2, v9
	v_lshlrev_b32_e32 v6, 2, v6
	ds_bpermute_b32 v11, v6, v10
	s_wait_dscnt 0x0
	v_add_f32_e32 v10, v10, v11
	ds_bpermute_b32 v11, v8, v10
	s_wait_dscnt 0x0
	v_dual_add_f32 v12, v10, v11 :: v_dual_and_b32 v11, 31, v0
	v_lshrrev_b32_e32 v10, 3, v0
	ds_bpermute_b32 v13, v9, v12
	v_cmp_eq_u32_e64 s3, 0, v11
	s_and_saveexec_b32 s4, s3
	s_cbranch_execz .LBB22_6
; %bb.5:
	s_wait_dscnt 0x0
	v_add_f32_e32 v12, v12, v13
	ds_store_b32 v10, v12
.LBB22_6:
	s_wait_alu 0xfffe
	s_or_b32 exec_lo, exec_lo, s4
	s_wait_dscnt 0x0
	s_barrier_signal -1
	s_barrier_wait -1
	global_inv scope:SCOPE_SE
	s_load_b32 s6, s[0:1], 0x3c
	v_dual_mov_b32 v12, 0 :: v_dual_lshlrev_b32 v11, 2, v11
	s_wait_kmcnt 0x0
	s_bfe_u32 s4, s6, 0xb0005
	s_wait_alu 0xfffe
	v_cmp_gt_u32_e64 s4, s4, v0
	s_and_saveexec_b32 s5, s4
; %bb.7:
	ds_load_b32 v12, v11
; %bb.8:
	s_wait_alu 0xfffe
	s_or_b32 exec_lo, exec_lo, s5
	s_wait_dscnt 0x0
	ds_bpermute_b32 v13, v4, v12
	v_cmp_eq_u32_e64 s5, 0, v0
	s_cvt_f32_i32 s7, s11
	s_wait_dscnt 0x0
	v_add_f32_e32 v12, v12, v13
	ds_bpermute_b32 v13, v5, v12
	s_wait_dscnt 0x0
	v_add_f32_e32 v12, v12, v13
	ds_bpermute_b32 v13, v6, v12
	;; [unrolled: 3-line block ×4, first 2 shown]
	s_and_saveexec_b32 s13, s5
	s_cbranch_execz .LBB22_10
; %bb.9:
	s_wait_dscnt 0x0
	v_add_f32_e32 v12, v12, v13
	s_wait_alu 0xfffe
	s_delay_alu instid0(VALU_DEP_1) | instskip(SKIP_1) | instid1(VALU_DEP_2)
	v_div_scale_f32 v13, null, s7, s7, v12
	v_div_scale_f32 v16, vcc_lo, v12, s7, v12
	v_rcp_f32_e32 v14, v13
	s_delay_alu instid0(TRANS32_DEP_1) | instskip(NEXT) | instid1(VALU_DEP_1)
	v_fma_f32 v15, -v13, v14, 1.0
	v_fmac_f32_e32 v14, v15, v14
	s_delay_alu instid0(VALU_DEP_1) | instskip(NEXT) | instid1(VALU_DEP_1)
	v_mul_f32_e32 v15, v16, v14
	v_fma_f32 v17, -v13, v15, v16
	s_delay_alu instid0(VALU_DEP_1) | instskip(NEXT) | instid1(VALU_DEP_1)
	v_fmac_f32_e32 v15, v17, v14
	v_fma_f32 v13, -v13, v15, v16
	s_wait_alu 0xfffd
	s_delay_alu instid0(VALU_DEP_1) | instskip(NEXT) | instid1(VALU_DEP_1)
	v_div_fmas_f32 v13, v13, v14, v15
	v_div_fixup_f32 v12, v13, s7, v12
	v_mov_b32_e32 v13, 0
	ds_store_b32 v13, v12 offset:132
.LBB22_10:
	s_wait_alu 0xfffe
	s_or_b32 exec_lo, exec_lo, s13
	s_and_b32 s6, 0xffff, s6
	v_mov_b32_e32 v12, 0
	s_wait_alu 0xfffe
	v_add_nc_u32_e32 v0, s6, v0
	s_wait_loadcnt_dscnt 0x0
	s_barrier_signal -1
	s_barrier_wait -1
	global_inv scope:SCOPE_SE
	s_and_saveexec_b32 s13, s2
	s_cbranch_execz .LBB22_12
; %bb.11:
	v_mov_b32_e32 v12, 0
	v_cmp_gt_u32_e32 vcc_lo, s11, v0
	ds_load_b32 v12, v12 offset:132
	s_wait_dscnt 0x0
	v_sub_f32_e32 v13, v3, v12
	s_delay_alu instid0(VALU_DEP_1) | instskip(NEXT) | instid1(VALU_DEP_1)
	v_dual_sub_f32 v12, v2, v12 :: v_dual_mul_f32 v13, v13, v13
	v_fma_f32 v12, v12, v12, v13
	s_wait_alu 0xfffd
	s_delay_alu instid0(VALU_DEP_1)
	v_cndmask_b32_e32 v12, v13, v12, vcc_lo
.LBB22_12:
	s_wait_alu 0xfffe
	s_or_b32 exec_lo, exec_lo, s13
	ds_bpermute_b32 v13, v4, v12
	s_wait_dscnt 0x0
	v_add_f32_e32 v12, v12, v13
	ds_bpermute_b32 v13, v5, v12
	s_wait_dscnt 0x0
	v_add_f32_e32 v12, v12, v13
	;; [unrolled: 3-line block ×4, first 2 shown]
	ds_bpermute_b32 v13, v9, v12
	s_and_saveexec_b32 s13, s3
	s_cbranch_execz .LBB22_14
; %bb.13:
	s_wait_dscnt 0x0
	v_add_f32_e32 v12, v12, v13
	ds_store_b32 v10, v12
.LBB22_14:
	s_wait_alu 0xfffe
	s_or_b32 exec_lo, exec_lo, s13
	v_mov_b32_e32 v10, 0
	s_wait_loadcnt_dscnt 0x0
	s_barrier_signal -1
	s_barrier_wait -1
	global_inv scope:SCOPE_SE
	s_and_saveexec_b32 s3, s4
; %bb.15:
	ds_load_b32 v10, v11
; %bb.16:
	s_or_b32 exec_lo, exec_lo, s3
	s_wait_dscnt 0x0
	ds_bpermute_b32 v4, v4, v10
	s_wait_dscnt 0x0
	v_add_f32_e32 v4, v10, v4
	ds_bpermute_b32 v5, v5, v4
	s_wait_dscnt 0x0
	v_add_f32_e32 v4, v4, v5
	;; [unrolled: 3-line block ×4, first 2 shown]
	ds_bpermute_b32 v5, v9, v4
	s_and_saveexec_b32 s3, s5
	s_cbranch_execz .LBB22_18
; %bb.17:
	s_wait_dscnt 0x0
	v_add_f32_e32 v4, v4, v5
	s_delay_alu instid0(VALU_DEP_1) | instskip(SKIP_1) | instid1(VALU_DEP_2)
	v_div_scale_f32 v5, null, s7, s7, v4
	v_div_scale_f32 v9, vcc_lo, v4, s7, v4
	v_rcp_f32_e32 v6, v5
	s_delay_alu instid0(TRANS32_DEP_1) | instskip(NEXT) | instid1(VALU_DEP_1)
	v_fma_f32 v8, -v5, v6, 1.0
	v_fmac_f32_e32 v6, v8, v6
	s_delay_alu instid0(VALU_DEP_1) | instskip(NEXT) | instid1(VALU_DEP_1)
	v_mul_f32_e32 v8, v9, v6
	v_fma_f32 v10, -v5, v8, v9
	s_delay_alu instid0(VALU_DEP_1) | instskip(NEXT) | instid1(VALU_DEP_1)
	v_fmac_f32_e32 v8, v10, v6
	v_fma_f32 v5, -v5, v8, v9
	s_wait_alu 0xfffd
	s_delay_alu instid0(VALU_DEP_1) | instskip(NEXT) | instid1(VALU_DEP_1)
	v_div_fmas_f32 v5, v5, v6, v8
	v_div_fixup_f32 v4, v5, s7, v4
	s_delay_alu instid0(VALU_DEP_1)
	v_dual_mov_b32 v5, 0 :: v_dual_add_f32 v4, s10, v4
	ds_store_b32 v5, v4 offset:128
.LBB22_18:
	s_or_b32 exec_lo, exec_lo, s3
	s_wait_loadcnt_dscnt 0x0
	s_barrier_signal -1
	s_barrier_wait -1
	global_inv scope:SCOPE_SE
	s_and_saveexec_b32 s3, s2
	s_cbranch_execz .LBB22_21
; %bb.19:
	s_load_b128 s[0:3], s[0:1], 0x18
	v_mov_b32_e32 v4, 0
	s_wait_kmcnt 0x0
	s_clause 0x1
	global_load_u16 v8, v7, s[0:1]
	global_load_u16 v9, v7, s[2:3]
	ds_load_b64 v[5:6], v4 offset:128
	s_wait_dscnt 0x0
	v_readfirstlane_b32 s4, v5
	v_sub_f32_e32 v3, v3, v6
	s_cmp_lt_f32 s4, 0x800000
	s_mul_f32 s5, s4, 0x4b800000
	s_wait_alu 0xfffe
	s_delay_alu instid0(SALU_CYCLE_2) | instskip(SKIP_2) | instid1(TRANS32_DEP_1)
	s_cselect_b32 s4, s5, s4
	s_wait_alu 0xfffe
	v_s_rsq_f32 s4, s4
	s_mul_f32 s5, s4, 0x45800000
	s_wait_alu 0xfffe
	s_delay_alu instid0(SALU_CYCLE_2)
	s_cselect_b32 s4, s5, s4
	s_wait_alu 0xfffe
	v_mul_f32_e32 v3, s4, v3
	s_wait_loadcnt 0x1
	v_lshlrev_b32_e32 v5, 16, v8
	s_wait_loadcnt 0x0
	v_lshlrev_b32_e32 v10, 16, v9
	s_delay_alu instid0(VALU_DEP_1) | instskip(NEXT) | instid1(VALU_DEP_1)
	v_dual_fmac_f32 v10, v3, v5 :: v_dual_mov_b32 v3, v1
	v_bfe_u32 v5, v10, 16, 1
	s_delay_alu instid0(VALU_DEP_2) | instskip(SKIP_2) | instid1(VALU_DEP_4)
	v_lshlrev_b64_e32 v[8:9], 1, v[3:4]
	v_or_b32_e32 v1, 0x400000, v10
	v_cmp_u_f32_e32 vcc_lo, v10, v10
	v_add3_u32 v5, v5, v10, 0x7fff
	s_wait_alu 0xfffd
	s_delay_alu instid0(VALU_DEP_1)
	v_cndmask_b32_e32 v1, v5, v1, vcc_lo
	v_add_co_u32 v8, vcc_lo, s8, v8
	s_wait_alu 0xfffd
	v_add_co_ci_u32_e64 v9, null, s9, v9, vcc_lo
	v_cmp_gt_u32_e32 vcc_lo, s11, v0
	global_store_d16_hi_b16 v[8:9], v1, off
	s_and_b32 exec_lo, exec_lo, vcc_lo
	s_cbranch_execz .LBB22_21
; %bb.20:
	v_add_co_u32 v1, s0, s0, v7
	s_wait_alu 0xf1ff
	v_add_co_ci_u32_e64 v3, null, s1, 0, s0
	v_add_co_u32 v5, s0, s2, v7
	s_wait_alu 0xf1ff
	v_add_co_ci_u32_e64 v10, null, s3, 0, s0
	s_lshl_b32 s0, s6, 1
	s_wait_alu 0xfffe
	v_add_co_u32 v7, vcc_lo, v1, s0
	s_wait_alu 0xfffd
	v_add_co_ci_u32_e64 v8, null, 0, v3, vcc_lo
	v_add_co_u32 v9, vcc_lo, v5, s0
	s_wait_alu 0xfffd
	v_add_co_ci_u32_e64 v10, null, 0, v10, vcc_lo
	global_load_u16 v1, v[7:8], off
	global_load_u16 v3, v[9:10], off
	s_wait_loadcnt 0x1
	v_dual_sub_f32 v2, v2, v6 :: v_dual_lshlrev_b32 v1, 16, v1
	s_wait_loadcnt 0x0
	s_delay_alu instid0(VALU_DEP_1) | instskip(NEXT) | instid1(VALU_DEP_1)
	v_dual_mul_f32 v2, s4, v2 :: v_dual_lshlrev_b32 v5, 16, v3
	v_fmac_f32_e32 v5, v2, v1
	s_delay_alu instid0(VALU_DEP_1) | instskip(SKIP_2) | instid1(VALU_DEP_3)
	v_bfe_u32 v1, v5, 16, 1
	v_or_b32_e32 v2, 0x400000, v5
	v_cmp_u_f32_e32 vcc_lo, v5, v5
	v_add3_u32 v6, v1, v5, 0x7fff
	s_wait_alu 0xfffd
	s_delay_alu instid0(VALU_DEP_1) | instskip(NEXT) | instid1(VALU_DEP_1)
	v_dual_cndmask_b32 v2, v6, v2 :: v_dual_add_nc_u32 v3, s12, v0
	v_lshlrev_b64_e32 v[0:1], 1, v[3:4]
	s_delay_alu instid0(VALU_DEP_1) | instskip(SKIP_1) | instid1(VALU_DEP_2)
	v_add_co_u32 v0, vcc_lo, s8, v0
	s_wait_alu 0xfffd
	v_add_co_ci_u32_e64 v1, null, s9, v1, vcc_lo
	global_store_d16_hi_b16 v[0:1], v2, off
.LBB22_21:
	s_endpgm
	.section	.rodata,"a",@progbits
	.p2align	6, 0x0
	.amdhsa_kernel _Z28addBiasResidualPostLayerNormI14__hip_bfloat16Li2ELi32EEvPT_PKS1_S4_S4_S4_fi
		.amdhsa_group_segment_fixed_size 136
		.amdhsa_private_segment_fixed_size 0
		.amdhsa_kernarg_size 304
		.amdhsa_user_sgpr_count 2
		.amdhsa_user_sgpr_dispatch_ptr 0
		.amdhsa_user_sgpr_queue_ptr 0
		.amdhsa_user_sgpr_kernarg_segment_ptr 1
		.amdhsa_user_sgpr_dispatch_id 0
		.amdhsa_user_sgpr_private_segment_size 0
		.amdhsa_wavefront_size32 1
		.amdhsa_uses_dynamic_stack 0
		.amdhsa_enable_private_segment 0
		.amdhsa_system_sgpr_workgroup_id_x 1
		.amdhsa_system_sgpr_workgroup_id_y 0
		.amdhsa_system_sgpr_workgroup_id_z 0
		.amdhsa_system_sgpr_workgroup_info 0
		.amdhsa_system_vgpr_workitem_id 0
		.amdhsa_next_free_vgpr 18
		.amdhsa_next_free_sgpr 15
		.amdhsa_reserve_vcc 1
		.amdhsa_float_round_mode_32 0
		.amdhsa_float_round_mode_16_64 0
		.amdhsa_float_denorm_mode_32 3
		.amdhsa_float_denorm_mode_16_64 3
		.amdhsa_fp16_overflow 0
		.amdhsa_workgroup_processor_mode 1
		.amdhsa_memory_ordered 1
		.amdhsa_forward_progress 1
		.amdhsa_inst_pref_size 18
		.amdhsa_round_robin_scheduling 0
		.amdhsa_exception_fp_ieee_invalid_op 0
		.amdhsa_exception_fp_denorm_src 0
		.amdhsa_exception_fp_ieee_div_zero 0
		.amdhsa_exception_fp_ieee_overflow 0
		.amdhsa_exception_fp_ieee_underflow 0
		.amdhsa_exception_fp_ieee_inexact 0
		.amdhsa_exception_int_div_zero 0
	.end_amdhsa_kernel
	.section	.text._Z28addBiasResidualPostLayerNormI14__hip_bfloat16Li2ELi32EEvPT_PKS1_S4_S4_S4_fi,"axG",@progbits,_Z28addBiasResidualPostLayerNormI14__hip_bfloat16Li2ELi32EEvPT_PKS1_S4_S4_S4_fi,comdat
.Lfunc_end22:
	.size	_Z28addBiasResidualPostLayerNormI14__hip_bfloat16Li2ELi32EEvPT_PKS1_S4_S4_S4_fi, .Lfunc_end22-_Z28addBiasResidualPostLayerNormI14__hip_bfloat16Li2ELi32EEvPT_PKS1_S4_S4_S4_fi
                                        ; -- End function
	.set _Z28addBiasResidualPostLayerNormI14__hip_bfloat16Li2ELi32EEvPT_PKS1_S4_S4_S4_fi.num_vgpr, 18
	.set _Z28addBiasResidualPostLayerNormI14__hip_bfloat16Li2ELi32EEvPT_PKS1_S4_S4_S4_fi.num_agpr, 0
	.set _Z28addBiasResidualPostLayerNormI14__hip_bfloat16Li2ELi32EEvPT_PKS1_S4_S4_S4_fi.numbered_sgpr, 15
	.set _Z28addBiasResidualPostLayerNormI14__hip_bfloat16Li2ELi32EEvPT_PKS1_S4_S4_S4_fi.num_named_barrier, 0
	.set _Z28addBiasResidualPostLayerNormI14__hip_bfloat16Li2ELi32EEvPT_PKS1_S4_S4_S4_fi.private_seg_size, 0
	.set _Z28addBiasResidualPostLayerNormI14__hip_bfloat16Li2ELi32EEvPT_PKS1_S4_S4_S4_fi.uses_vcc, 1
	.set _Z28addBiasResidualPostLayerNormI14__hip_bfloat16Li2ELi32EEvPT_PKS1_S4_S4_S4_fi.uses_flat_scratch, 0
	.set _Z28addBiasResidualPostLayerNormI14__hip_bfloat16Li2ELi32EEvPT_PKS1_S4_S4_S4_fi.has_dyn_sized_stack, 0
	.set _Z28addBiasResidualPostLayerNormI14__hip_bfloat16Li2ELi32EEvPT_PKS1_S4_S4_S4_fi.has_recursion, 0
	.set _Z28addBiasResidualPostLayerNormI14__hip_bfloat16Li2ELi32EEvPT_PKS1_S4_S4_S4_fi.has_indirect_call, 0
	.section	.AMDGPU.csdata,"",@progbits
; Kernel info:
; codeLenInByte = 2216
; TotalNumSgprs: 17
; NumVgprs: 18
; ScratchSize: 0
; MemoryBound: 0
; FloatMode: 240
; IeeeMode: 1
; LDSByteSize: 136 bytes/workgroup (compile time only)
; SGPRBlocks: 0
; VGPRBlocks: 2
; NumSGPRsForWavesPerEU: 17
; NumVGPRsForWavesPerEU: 18
; Occupancy: 16
; WaveLimiterHint : 0
; COMPUTE_PGM_RSRC2:SCRATCH_EN: 0
; COMPUTE_PGM_RSRC2:USER_SGPR: 2
; COMPUTE_PGM_RSRC2:TRAP_HANDLER: 0
; COMPUTE_PGM_RSRC2:TGID_X_EN: 1
; COMPUTE_PGM_RSRC2:TGID_Y_EN: 0
; COMPUTE_PGM_RSRC2:TGID_Z_EN: 0
; COMPUTE_PGM_RSRC2:TIDIG_COMP_CNT: 0
	.section	.text._Z35generalAddBiasResidualPostLayerNormI14__hip_bfloat16Li32EEvPT_PKS1_S4_S4_S4_fi,"axG",@progbits,_Z35generalAddBiasResidualPostLayerNormI14__hip_bfloat16Li32EEvPT_PKS1_S4_S4_S4_fi,comdat
	.protected	_Z35generalAddBiasResidualPostLayerNormI14__hip_bfloat16Li32EEvPT_PKS1_S4_S4_S4_fi ; -- Begin function _Z35generalAddBiasResidualPostLayerNormI14__hip_bfloat16Li32EEvPT_PKS1_S4_S4_S4_fi
	.globl	_Z35generalAddBiasResidualPostLayerNormI14__hip_bfloat16Li32EEvPT_PKS1_S4_S4_S4_fi
	.p2align	8
	.type	_Z35generalAddBiasResidualPostLayerNormI14__hip_bfloat16Li32EEvPT_PKS1_S4_S4_S4_fi,@function
_Z35generalAddBiasResidualPostLayerNormI14__hip_bfloat16Li32EEvPT_PKS1_S4_S4_S4_fi: ; @_Z35generalAddBiasResidualPostLayerNormI14__hip_bfloat16Li32EEvPT_PKS1_S4_S4_S4_fi
; %bb.0:
	s_clause 0x2
	s_load_b64 s[14:15], s[0:1], 0x28
	s_load_b64 s[12:13], s[0:1], 0x0
	s_load_b128 s[4:7], s[0:1], 0x18
	v_dual_mov_b32 v4, 0 :: v_dual_lshlrev_b32 v3, 2, v0
	s_wait_kmcnt 0x0
	s_lshr_b32 s2, s15, 31
	s_mul_i32 s17, s15, ttmp9
	s_add_co_i32 s2, s15, s2
	s_delay_alu instid0(SALU_CYCLE_1) | instskip(NEXT) | instid1(SALU_CYCLE_1)
	s_ashr_i32 s16, s2, 1
	v_cmp_gt_i32_e64 s2, s16, v0
	s_and_saveexec_b32 s18, s2
	s_cbranch_execz .LBB23_4
; %bb.1:
	s_clause 0x1
	s_load_b128 s[8:11], s[0:1], 0x8
	s_load_b32 s3, s[0:1], 0x3c
	v_dual_mov_b32 v4, 0 :: v_dual_mov_b32 v5, v0
	s_lshr_b32 s19, s17, 1
	s_wait_kmcnt 0x0
	v_add_co_u32 v1, s10, s10, v3
	s_wait_alu 0xf1ff
	v_add_co_ci_u32_e64 v2, null, s11, 0, s10
	s_and_b32 s11, s3, 0xffff
	s_mov_b32 s10, 0
	s_wait_alu 0xfffe
	s_lshl_b32 s20, s11, 2
.LBB23_2:                               ; =>This Inner Loop Header: Depth=1
	v_add_nc_u32_e32 v6, s19, v5
	s_delay_alu instid0(VALU_DEP_1) | instskip(NEXT) | instid1(VALU_DEP_1)
	v_ashrrev_i32_e32 v7, 31, v6
	v_lshlrev_b64_e32 v[6:7], 2, v[6:7]
	s_delay_alu instid0(VALU_DEP_1) | instskip(SKIP_1) | instid1(VALU_DEP_2)
	v_add_co_u32 v8, vcc_lo, s8, v6
	s_wait_alu 0xfffd
	v_add_co_ci_u32_e64 v9, null, s9, v7, vcc_lo
	v_add_co_u32 v6, vcc_lo, s12, v6
	s_wait_alu 0xfffd
	v_add_co_ci_u32_e64 v7, null, s13, v7, vcc_lo
	global_load_b32 v8, v[8:9], off
	global_load_b32 v9, v[6:7], off
	;; [unrolled: 1-line block ×3, first 2 shown]
	s_wait_loadcnt 0x2
	v_lshlrev_b32_e32 v11, 16, v8
	s_wait_loadcnt 0x1
	v_lshlrev_b32_e32 v12, 16, v9
	v_and_b32_e32 v9, 0xffff0000, v9
	s_delay_alu instid0(VALU_DEP_2) | instskip(NEXT) | instid1(VALU_DEP_1)
	v_add_f32_e32 v11, v12, v11
	v_or_b32_e32 v13, 0x400000, v11
	v_cmp_u_f32_e32 vcc_lo, v11, v11
	v_and_b32_e32 v8, 0xffff0000, v8
	s_delay_alu instid0(VALU_DEP_1) | instskip(SKIP_1) | instid1(VALU_DEP_1)
	v_add_f32_e32 v8, v9, v8
	v_bfe_u32 v9, v11, 16, 1
	v_add3_u32 v9, v9, v11, 0x7fff
	s_wait_loadcnt 0x0
	v_lshlrev_b32_e32 v11, 16, v10
	v_bfe_u32 v12, v8, 16, 1
	v_or_b32_e32 v14, 0x400000, v8
	s_wait_alu 0xfffd
	v_dual_cndmask_b32 v9, v9, v13 :: v_dual_and_b32 v10, 0xffff0000, v10
	v_cmp_u_f32_e32 vcc_lo, v8, v8
	v_add3_u32 v12, v12, v8, 0x7fff
	s_wait_alu 0xfffd
	s_delay_alu instid0(VALU_DEP_1) | instskip(NEXT) | instid1(VALU_DEP_1)
	v_dual_cndmask_b32 v8, v12, v14 :: v_dual_and_b32 v9, 0xffff0000, v9
	v_dual_add_f32 v9, v9, v11 :: v_dual_and_b32 v8, 0xffff0000, v8
	s_delay_alu instid0(VALU_DEP_1) | instskip(SKIP_1) | instid1(VALU_DEP_3)
	v_or_b32_e32 v12, 0x400000, v9
	v_cmp_u_f32_e32 vcc_lo, v9, v9
	v_add_f32_e32 v8, v8, v10
	v_bfe_u32 v10, v9, 16, 1
	s_delay_alu instid0(VALU_DEP_2) | instskip(NEXT) | instid1(VALU_DEP_2)
	v_bfe_u32 v11, v8, 16, 1
	v_add3_u32 v10, v10, v9, 0x7fff
	v_or_b32_e32 v13, 0x400000, v8
	s_delay_alu instid0(VALU_DEP_3) | instskip(SKIP_1) | instid1(VALU_DEP_3)
	v_add3_u32 v11, v11, v8, 0x7fff
	s_wait_alu 0xfffd
	v_cndmask_b32_e32 v9, v10, v12, vcc_lo
	v_cmp_u_f32_e32 vcc_lo, v8, v8
	s_wait_alu 0xfffd
	v_cndmask_b32_e32 v8, v11, v13, vcc_lo
	s_delay_alu instid0(VALU_DEP_3) | instskip(SKIP_3) | instid1(VALU_DEP_3)
	v_and_b32_e32 v10, 0xffff0000, v9
	v_add_co_u32 v1, vcc_lo, v1, s20
	s_wait_alu 0xfffd
	v_add_co_ci_u32_e64 v2, null, 0, v2, vcc_lo
	v_dual_add_f32 v4, v4, v10 :: v_dual_and_b32 v11, 0xffff0000, v8
	v_add_nc_u32_e32 v5, s11, v5
	v_perm_b32 v8, v8, v9, 0x7060302
	s_delay_alu instid0(VALU_DEP_3) | instskip(NEXT) | instid1(VALU_DEP_3)
	v_add_f32_e32 v4, v4, v11
	v_cmp_le_i32_e64 s3, s16, v5
	global_store_b32 v[6:7], v8, off
	s_or_b32 s10, s3, s10
	s_wait_alu 0xfffe
	s_and_not1_b32 exec_lo, exec_lo, s10
	s_cbranch_execnz .LBB23_2
; %bb.3:
	s_or_b32 exec_lo, exec_lo, s10
.LBB23_4:
	s_delay_alu instid0(SALU_CYCLE_1) | instskip(SKIP_1) | instid1(VALU_DEP_1)
	s_or_b32 exec_lo, exec_lo, s18
	v_mbcnt_lo_u32_b32 v6, -1, 0
	v_xor_b32_e32 v1, 16, v6
	v_xor_b32_e32 v2, 8, v6
	;; [unrolled: 1-line block ×3, first 2 shown]
	s_delay_alu instid0(VALU_DEP_3)
	v_cmp_gt_i32_e32 vcc_lo, 32, v1
	s_wait_alu 0xfffd
	v_cndmask_b32_e32 v1, v6, v1, vcc_lo
	v_cmp_gt_i32_e32 vcc_lo, 32, v2
	s_wait_alu 0xfffd
	v_cndmask_b32_e32 v2, v6, v2, vcc_lo
	s_delay_alu instid0(VALU_DEP_1)
	v_lshlrev_b32_e32 v2, 2, v2
	v_lshlrev_b32_e32 v1, 2, v1
	ds_bpermute_b32 v5, v1, v4
	s_wait_dscnt 0x0
	v_add_f32_e32 v5, v4, v5
	v_xor_b32_e32 v4, 4, v6
	ds_bpermute_b32 v7, v2, v5
	v_cmp_gt_i32_e32 vcc_lo, 32, v4
	s_wait_alu 0xfffd
	v_cndmask_b32_e32 v4, v6, v4, vcc_lo
	s_wait_dscnt 0x0
	s_delay_alu instid0(VALU_DEP_1)
	v_dual_add_f32 v7, v5, v7 :: v_dual_lshlrev_b32 v4, 2, v4
	v_xor_b32_e32 v5, 2, v6
	ds_bpermute_b32 v8, v4, v7
	v_cmp_gt_i32_e32 vcc_lo, 32, v5
	s_wait_alu 0xfffd
	v_cndmask_b32_e32 v5, v6, v5, vcc_lo
	v_cmp_gt_i32_e32 vcc_lo, 32, v9
	s_wait_alu 0xfffd
	v_cndmask_b32_e32 v6, v6, v9, vcc_lo
	s_delay_alu instid0(VALU_DEP_1)
	v_lshlrev_b32_e32 v6, 2, v6
	v_lshlrev_b32_e32 v5, 2, v5
	s_wait_dscnt 0x0
	v_add_f32_e32 v7, v7, v8
	ds_bpermute_b32 v8, v5, v7
	s_wait_dscnt 0x0
	v_add_f32_e32 v9, v7, v8
	v_and_b32_e32 v8, 31, v0
	v_lshrrev_b32_e32 v7, 3, v0
	ds_bpermute_b32 v10, v6, v9
	v_cmp_eq_u32_e64 s3, 0, v8
	s_and_saveexec_b32 s8, s3
	s_cbranch_execz .LBB23_6
; %bb.5:
	s_wait_dscnt 0x0
	v_add_f32_e32 v9, v9, v10
	ds_store_b32 v7, v9
.LBB23_6:
	s_wait_alu 0xfffe
	s_or_b32 exec_lo, exec_lo, s8
	s_wait_storecnt_dscnt 0x0
	s_barrier_signal -1
	s_barrier_wait -1
	global_inv scope:SCOPE_SE
	s_load_b32 s8, s[0:1], 0x3c
	v_dual_mov_b32 v9, 0 :: v_dual_lshlrev_b32 v8, 2, v8
	s_wait_kmcnt 0x0
	s_bfe_u32 s0, s8, 0xb0005
	s_delay_alu instid0(SALU_CYCLE_1)
	v_cmp_gt_u32_e64 s0, s0, v0
	s_and_saveexec_b32 s1, s0
; %bb.7:
	ds_load_b32 v9, v8
; %bb.8:
	s_wait_alu 0xfffe
	s_or_b32 exec_lo, exec_lo, s1
	s_wait_dscnt 0x0
	ds_bpermute_b32 v10, v1, v9
	v_cmp_eq_u32_e64 s1, 0, v0
	s_cvt_f32_i32 s9, s15
	s_wait_dscnt 0x0
	v_add_f32_e32 v9, v9, v10
	ds_bpermute_b32 v10, v2, v9
	s_wait_dscnt 0x0
	v_add_f32_e32 v9, v9, v10
	ds_bpermute_b32 v10, v4, v9
	s_wait_dscnt 0x0
	v_add_f32_e32 v9, v9, v10
	ds_bpermute_b32 v10, v5, v9
	s_wait_dscnt 0x0
	v_add_f32_e32 v9, v9, v10
	ds_bpermute_b32 v10, v6, v9
	s_and_saveexec_b32 s10, s1
	s_cbranch_execz .LBB23_10
; %bb.9:
	s_wait_dscnt 0x0
	v_add_f32_e32 v9, v9, v10
	s_wait_alu 0xfffe
	s_delay_alu instid0(VALU_DEP_1) | instskip(SKIP_1) | instid1(VALU_DEP_2)
	v_div_scale_f32 v10, null, s9, s9, v9
	v_div_scale_f32 v13, vcc_lo, v9, s9, v9
	v_rcp_f32_e32 v11, v10
	s_delay_alu instid0(TRANS32_DEP_1) | instskip(NEXT) | instid1(VALU_DEP_1)
	v_fma_f32 v12, -v10, v11, 1.0
	v_fmac_f32_e32 v11, v12, v11
	s_delay_alu instid0(VALU_DEP_1) | instskip(NEXT) | instid1(VALU_DEP_1)
	v_mul_f32_e32 v12, v13, v11
	v_fma_f32 v14, -v10, v12, v13
	s_delay_alu instid0(VALU_DEP_1) | instskip(NEXT) | instid1(VALU_DEP_1)
	v_fmac_f32_e32 v12, v14, v11
	v_fma_f32 v10, -v10, v12, v13
	s_wait_alu 0xfffd
	s_delay_alu instid0(VALU_DEP_1) | instskip(NEXT) | instid1(VALU_DEP_1)
	v_div_fmas_f32 v10, v10, v11, v12
	v_div_fixup_f32 v9, v10, s9, v9
	v_mov_b32_e32 v10, 0
	ds_store_b32 v10, v9 offset:132
.LBB23_10:
	s_wait_alu 0xfffe
	s_or_b32 exec_lo, exec_lo, s10
	v_mov_b32_e32 v9, 0
	s_and_b32 s8, 0xffff, s8
	s_wait_loadcnt_dscnt 0x0
	s_barrier_signal -1
	s_barrier_wait -1
	global_inv scope:SCOPE_SE
	s_and_saveexec_b32 s10, s2
	s_cbranch_execz .LBB23_14
; %bb.11:
	v_mov_b32_e32 v9, 0
	v_mov_b32_e32 v11, v0
	s_lshr_b32 s15, s17, 1
	s_mov_b32 s11, 0
	ds_load_b32 v10, v9 offset:132
.LBB23_12:                              ; =>This Inner Loop Header: Depth=1
	v_add_nc_u32_e32 v12, s15, v11
	s_wait_alu 0xfffe
	v_add_nc_u32_e32 v11, s8, v11
	s_delay_alu instid0(VALU_DEP_2) | instskip(NEXT) | instid1(VALU_DEP_1)
	v_ashrrev_i32_e32 v13, 31, v12
	v_lshlrev_b64_e32 v[12:13], 2, v[12:13]
	s_delay_alu instid0(VALU_DEP_1) | instskip(SKIP_1) | instid1(VALU_DEP_2)
	v_add_co_u32 v12, vcc_lo, s12, v12
	s_wait_alu 0xfffd
	v_add_co_ci_u32_e64 v13, null, s13, v13, vcc_lo
	v_cmp_le_i32_e32 vcc_lo, s16, v11
	global_load_b32 v12, v[12:13], off
	s_or_b32 s11, vcc_lo, s11
	s_wait_loadcnt 0x0
	v_lshlrev_b32_e32 v13, 16, v12
	v_and_b32_e32 v12, 0xffff0000, v12
	s_wait_dscnt 0x0
	s_delay_alu instid0(VALU_DEP_1) | instskip(NEXT) | instid1(VALU_DEP_3)
	v_sub_f32_e32 v12, v12, v10
	v_sub_f32_e32 v13, v13, v10
	s_delay_alu instid0(VALU_DEP_1) | instskip(NEXT) | instid1(VALU_DEP_1)
	v_fmac_f32_e32 v9, v13, v13
	v_fmac_f32_e32 v9, v12, v12
	s_wait_alu 0xfffe
	s_and_not1_b32 exec_lo, exec_lo, s11
	s_cbranch_execnz .LBB23_12
; %bb.13:
	s_or_b32 exec_lo, exec_lo, s11
.LBB23_14:
	s_wait_alu 0xfffe
	s_or_b32 exec_lo, exec_lo, s10
	ds_bpermute_b32 v10, v1, v9
	s_wait_dscnt 0x0
	v_add_f32_e32 v9, v9, v10
	ds_bpermute_b32 v10, v2, v9
	s_wait_dscnt 0x0
	v_add_f32_e32 v9, v9, v10
	;; [unrolled: 3-line block ×4, first 2 shown]
	ds_bpermute_b32 v10, v6, v9
	s_and_saveexec_b32 s10, s3
	s_cbranch_execz .LBB23_16
; %bb.15:
	s_wait_dscnt 0x0
	v_add_f32_e32 v9, v9, v10
	ds_store_b32 v7, v9
.LBB23_16:
	s_wait_alu 0xfffe
	s_or_b32 exec_lo, exec_lo, s10
	v_mov_b32_e32 v7, 0
	s_wait_loadcnt_dscnt 0x0
	s_barrier_signal -1
	s_barrier_wait -1
	global_inv scope:SCOPE_SE
	s_and_saveexec_b32 s3, s0
; %bb.17:
	ds_load_b32 v7, v8
; %bb.18:
	s_or_b32 exec_lo, exec_lo, s3
	s_wait_dscnt 0x0
	ds_bpermute_b32 v1, v1, v7
	s_wait_dscnt 0x0
	v_add_f32_e32 v1, v7, v1
	ds_bpermute_b32 v2, v2, v1
	s_wait_dscnt 0x0
	v_add_f32_e32 v1, v1, v2
	;; [unrolled: 3-line block ×4, first 2 shown]
	ds_bpermute_b32 v2, v6, v1
	s_and_saveexec_b32 s0, s1
	s_cbranch_execz .LBB23_20
; %bb.19:
	s_wait_dscnt 0x0
	v_add_f32_e32 v1, v1, v2
	s_delay_alu instid0(VALU_DEP_1) | instskip(SKIP_1) | instid1(VALU_DEP_2)
	v_div_scale_f32 v2, null, s9, s9, v1
	v_div_scale_f32 v6, vcc_lo, v1, s9, v1
	v_rcp_f32_e32 v4, v2
	s_delay_alu instid0(TRANS32_DEP_1) | instskip(NEXT) | instid1(VALU_DEP_1)
	v_fma_f32 v5, -v2, v4, 1.0
	v_fmac_f32_e32 v4, v5, v4
	s_delay_alu instid0(VALU_DEP_1) | instskip(NEXT) | instid1(VALU_DEP_1)
	v_mul_f32_e32 v5, v6, v4
	v_fma_f32 v7, -v2, v5, v6
	s_delay_alu instid0(VALU_DEP_1) | instskip(NEXT) | instid1(VALU_DEP_1)
	v_fmac_f32_e32 v5, v7, v4
	v_fma_f32 v2, -v2, v5, v6
	s_wait_alu 0xfffd
	s_delay_alu instid0(VALU_DEP_1) | instskip(NEXT) | instid1(VALU_DEP_1)
	v_div_fmas_f32 v2, v2, v4, v5
	v_div_fixup_f32 v1, v2, s9, v1
	s_delay_alu instid0(VALU_DEP_1) | instskip(NEXT) | instid1(VALU_DEP_1)
	v_add_f32_e32 v1, s14, v1
	v_mul_f32_e32 v2, 0x4b800000, v1
	v_cmp_gt_f32_e32 vcc_lo, 0x800000, v1
	s_wait_alu 0xfffd
	s_delay_alu instid0(VALU_DEP_2) | instskip(NEXT) | instid1(VALU_DEP_1)
	v_cndmask_b32_e32 v1, v1, v2, vcc_lo
	v_rsq_f32_e32 v1, v1
	s_delay_alu instid0(TRANS32_DEP_1) | instskip(NEXT) | instid1(VALU_DEP_1)
	v_mul_f32_e32 v2, 0x45800000, v1
	v_dual_cndmask_b32 v1, v1, v2 :: v_dual_mov_b32 v2, 0
	ds_store_b32 v2, v1 offset:128
.LBB23_20:
	s_wait_alu 0xfffe
	s_or_b32 exec_lo, exec_lo, s0
	s_wait_loadcnt_dscnt 0x0
	s_barrier_signal -1
	s_barrier_wait -1
	global_inv scope:SCOPE_SE
	s_and_saveexec_b32 s0, s2
	s_cbranch_execz .LBB23_23
; %bb.21:
	v_mov_b32_e32 v4, 0
	s_lshr_b32 s1, s17, 1
	s_mov_b32 s2, 0
	s_lshl_b32 s3, s8, 2
	ds_load_b64 v[1:2], v4 offset:128
.LBB23_22:                              ; =>This Inner Loop Header: Depth=1
	s_wait_alu 0xfffe
	v_add_nc_u32_e32 v5, s1, v0
	v_add_co_u32 v7, vcc_lo, s4, v3
	s_wait_alu 0xfffd
	v_add_co_ci_u32_e64 v8, null, s5, v4, vcc_lo
	s_delay_alu instid0(VALU_DEP_3) | instskip(SKIP_3) | instid1(VALU_DEP_3)
	v_ashrrev_i32_e32 v6, 31, v5
	v_add_co_u32 v9, vcc_lo, s6, v3
	s_wait_alu 0xfffd
	v_add_co_ci_u32_e64 v10, null, s7, v4, vcc_lo
	v_lshlrev_b64_e32 v[5:6], 2, v[5:6]
	v_add_nc_u32_e32 v0, s8, v0
	s_delay_alu instid0(VALU_DEP_2) | instskip(SKIP_1) | instid1(VALU_DEP_3)
	v_add_co_u32 v5, s0, s12, v5
	s_wait_alu 0xf1ff
	v_add_co_ci_u32_e64 v6, null, s13, v6, s0
	global_load_b32 v11, v[5:6], off
	global_load_b32 v7, v[7:8], off
	;; [unrolled: 1-line block ×3, first 2 shown]
	s_wait_loadcnt 0x2
	v_and_b32_e32 v10, 0xffff0000, v11
	s_wait_dscnt 0x0
	s_delay_alu instid0(VALU_DEP_1) | instskip(SKIP_2) | instid1(VALU_DEP_2)
	v_dual_sub_f32 v10, v10, v2 :: v_dual_lshlrev_b32 v9, 16, v11
	s_wait_loadcnt 0x1
	v_lshlrev_b32_e32 v11, 16, v7
	v_dual_mul_f32 v10, v10, v1 :: v_dual_and_b32 v7, 0xffff0000, v7
	s_wait_loadcnt 0x0
	v_dual_sub_f32 v9, v9, v2 :: v_dual_lshlrev_b32 v12, 16, v8
	s_delay_alu instid0(VALU_DEP_1) | instskip(NEXT) | instid1(VALU_DEP_1)
	v_dual_mul_f32 v9, v9, v1 :: v_dual_and_b32 v8, 0xffff0000, v8
	v_fmac_f32_e32 v8, v10, v7
	s_delay_alu instid0(VALU_DEP_2) | instskip(NEXT) | instid1(VALU_DEP_2)
	v_fmac_f32_e32 v12, v9, v11
	v_bfe_u32 v9, v8, 16, 1
	v_or_b32_e32 v11, 0x400000, v8
	v_cmp_u_f32_e32 vcc_lo, v8, v8
	s_delay_alu instid0(VALU_DEP_4) | instskip(SKIP_3) | instid1(VALU_DEP_4)
	v_bfe_u32 v7, v12, 16, 1
	v_or_b32_e32 v10, 0x400000, v12
	v_add3_u32 v9, v9, v8, 0x7fff
	v_cmp_u_f32_e64 s0, v12, v12
	v_add3_u32 v7, v7, v12, 0x7fff
	s_wait_alu 0xfffd
	s_delay_alu instid0(VALU_DEP_3)
	v_cndmask_b32_e32 v8, v9, v11, vcc_lo
	v_add_co_u32 v3, vcc_lo, v3, s3
	s_wait_alu 0xf1ff
	v_cndmask_b32_e64 v7, v7, v10, s0
	v_cmp_le_i32_e64 s0, s16, v0
	s_wait_alu 0xfffd
	v_add_co_ci_u32_e64 v4, null, 0, v4, vcc_lo
	s_delay_alu instid0(VALU_DEP_3) | instskip(NEXT) | instid1(VALU_DEP_3)
	v_perm_b32 v7, v8, v7, 0x7060302
	s_or_b32 s2, s0, s2
	global_store_b32 v[5:6], v7, off
	s_wait_alu 0xfffe
	s_and_not1_b32 exec_lo, exec_lo, s2
	s_cbranch_execnz .LBB23_22
.LBB23_23:
	s_endpgm
	.section	.rodata,"a",@progbits
	.p2align	6, 0x0
	.amdhsa_kernel _Z35generalAddBiasResidualPostLayerNormI14__hip_bfloat16Li32EEvPT_PKS1_S4_S4_S4_fi
		.amdhsa_group_segment_fixed_size 136
		.amdhsa_private_segment_fixed_size 0
		.amdhsa_kernarg_size 304
		.amdhsa_user_sgpr_count 2
		.amdhsa_user_sgpr_dispatch_ptr 0
		.amdhsa_user_sgpr_queue_ptr 0
		.amdhsa_user_sgpr_kernarg_segment_ptr 1
		.amdhsa_user_sgpr_dispatch_id 0
		.amdhsa_user_sgpr_private_segment_size 0
		.amdhsa_wavefront_size32 1
		.amdhsa_uses_dynamic_stack 0
		.amdhsa_enable_private_segment 0
		.amdhsa_system_sgpr_workgroup_id_x 1
		.amdhsa_system_sgpr_workgroup_id_y 0
		.amdhsa_system_sgpr_workgroup_id_z 0
		.amdhsa_system_sgpr_workgroup_info 0
		.amdhsa_system_vgpr_workitem_id 0
		.amdhsa_next_free_vgpr 15
		.amdhsa_next_free_sgpr 21
		.amdhsa_reserve_vcc 1
		.amdhsa_float_round_mode_32 0
		.amdhsa_float_round_mode_16_64 0
		.amdhsa_float_denorm_mode_32 3
		.amdhsa_float_denorm_mode_16_64 3
		.amdhsa_fp16_overflow 0
		.amdhsa_workgroup_processor_mode 1
		.amdhsa_memory_ordered 1
		.amdhsa_forward_progress 1
		.amdhsa_inst_pref_size 18
		.amdhsa_round_robin_scheduling 0
		.amdhsa_exception_fp_ieee_invalid_op 0
		.amdhsa_exception_fp_denorm_src 0
		.amdhsa_exception_fp_ieee_div_zero 0
		.amdhsa_exception_fp_ieee_overflow 0
		.amdhsa_exception_fp_ieee_underflow 0
		.amdhsa_exception_fp_ieee_inexact 0
		.amdhsa_exception_int_div_zero 0
	.end_amdhsa_kernel
	.section	.text._Z35generalAddBiasResidualPostLayerNormI14__hip_bfloat16Li32EEvPT_PKS1_S4_S4_S4_fi,"axG",@progbits,_Z35generalAddBiasResidualPostLayerNormI14__hip_bfloat16Li32EEvPT_PKS1_S4_S4_S4_fi,comdat
.Lfunc_end23:
	.size	_Z35generalAddBiasResidualPostLayerNormI14__hip_bfloat16Li32EEvPT_PKS1_S4_S4_S4_fi, .Lfunc_end23-_Z35generalAddBiasResidualPostLayerNormI14__hip_bfloat16Li32EEvPT_PKS1_S4_S4_S4_fi
                                        ; -- End function
	.set _Z35generalAddBiasResidualPostLayerNormI14__hip_bfloat16Li32EEvPT_PKS1_S4_S4_S4_fi.num_vgpr, 15
	.set _Z35generalAddBiasResidualPostLayerNormI14__hip_bfloat16Li32EEvPT_PKS1_S4_S4_S4_fi.num_agpr, 0
	.set _Z35generalAddBiasResidualPostLayerNormI14__hip_bfloat16Li32EEvPT_PKS1_S4_S4_S4_fi.numbered_sgpr, 21
	.set _Z35generalAddBiasResidualPostLayerNormI14__hip_bfloat16Li32EEvPT_PKS1_S4_S4_S4_fi.num_named_barrier, 0
	.set _Z35generalAddBiasResidualPostLayerNormI14__hip_bfloat16Li32EEvPT_PKS1_S4_S4_S4_fi.private_seg_size, 0
	.set _Z35generalAddBiasResidualPostLayerNormI14__hip_bfloat16Li32EEvPT_PKS1_S4_S4_S4_fi.uses_vcc, 1
	.set _Z35generalAddBiasResidualPostLayerNormI14__hip_bfloat16Li32EEvPT_PKS1_S4_S4_S4_fi.uses_flat_scratch, 0
	.set _Z35generalAddBiasResidualPostLayerNormI14__hip_bfloat16Li32EEvPT_PKS1_S4_S4_S4_fi.has_dyn_sized_stack, 0
	.set _Z35generalAddBiasResidualPostLayerNormI14__hip_bfloat16Li32EEvPT_PKS1_S4_S4_S4_fi.has_recursion, 0
	.set _Z35generalAddBiasResidualPostLayerNormI14__hip_bfloat16Li32EEvPT_PKS1_S4_S4_S4_fi.has_indirect_call, 0
	.section	.AMDGPU.csdata,"",@progbits
; Kernel info:
; codeLenInByte = 2236
; TotalNumSgprs: 23
; NumVgprs: 15
; ScratchSize: 0
; MemoryBound: 0
; FloatMode: 240
; IeeeMode: 1
; LDSByteSize: 136 bytes/workgroup (compile time only)
; SGPRBlocks: 0
; VGPRBlocks: 1
; NumSGPRsForWavesPerEU: 23
; NumVGPRsForWavesPerEU: 15
; Occupancy: 16
; WaveLimiterHint : 0
; COMPUTE_PGM_RSRC2:SCRATCH_EN: 0
; COMPUTE_PGM_RSRC2:USER_SGPR: 2
; COMPUTE_PGM_RSRC2:TRAP_HANDLER: 0
; COMPUTE_PGM_RSRC2:TGID_X_EN: 1
; COMPUTE_PGM_RSRC2:TGID_Y_EN: 0
; COMPUTE_PGM_RSRC2:TGID_Z_EN: 0
; COMPUTE_PGM_RSRC2:TIDIG_COMP_CNT: 0
	.section	.AMDGPU.gpr_maximums,"",@progbits
	.set amdgpu.max_num_vgpr, 0
	.set amdgpu.max_num_agpr, 0
	.set amdgpu.max_num_sgpr, 0
	.section	.AMDGPU.csdata,"",@progbits
	.type	__hip_cuid_dea07aa511b6f2bf,@object ; @__hip_cuid_dea07aa511b6f2bf
	.section	.bss,"aw",@nobits
	.globl	__hip_cuid_dea07aa511b6f2bf
__hip_cuid_dea07aa511b6f2bf:
	.byte	0                               ; 0x0
	.size	__hip_cuid_dea07aa511b6f2bf, 1

	.ident	"AMD clang version 22.0.0git (https://github.com/RadeonOpenCompute/llvm-project roc-7.2.4 26084 f58b06dce1f9c15707c5f808fd002e18c2accf7e)"
	.section	".note.GNU-stack","",@progbits
	.addrsig
	.addrsig_sym __hip_cuid_dea07aa511b6f2bf
	.amdgpu_metadata
---
amdhsa.kernels:
  - .args:
      - .address_space:  global
        .offset:         0
        .size:           8
        .value_kind:     global_buffer
      - .actual_access:  read_only
        .address_space:  global
        .offset:         8
        .size:           8
        .value_kind:     global_buffer
      - .actual_access:  read_only
        .address_space:  global
        .offset:         16
        .size:           8
        .value_kind:     global_buffer
      - .actual_access:  read_only
        .address_space:  global
        .offset:         24
        .size:           8
        .value_kind:     global_buffer
      - .actual_access:  read_only
        .address_space:  global
        .offset:         32
        .size:           8
        .value_kind:     global_buffer
      - .offset:         40
        .size:           4
        .value_kind:     by_value
      - .offset:         44
        .size:           4
        .value_kind:     by_value
      - .offset:         48
        .size:           4
        .value_kind:     hidden_block_count_x
      - .offset:         52
        .size:           4
        .value_kind:     hidden_block_count_y
      - .offset:         56
        .size:           4
        .value_kind:     hidden_block_count_z
      - .offset:         60
        .size:           2
        .value_kind:     hidden_group_size_x
      - .offset:         62
        .size:           2
        .value_kind:     hidden_group_size_y
      - .offset:         64
        .size:           2
        .value_kind:     hidden_group_size_z
      - .offset:         66
        .size:           2
        .value_kind:     hidden_remainder_x
      - .offset:         68
        .size:           2
        .value_kind:     hidden_remainder_y
      - .offset:         70
        .size:           2
        .value_kind:     hidden_remainder_z
      - .offset:         88
        .size:           8
        .value_kind:     hidden_global_offset_x
      - .offset:         96
        .size:           8
        .value_kind:     hidden_global_offset_y
      - .offset:         104
        .size:           8
        .value_kind:     hidden_global_offset_z
      - .offset:         112
        .size:           2
        .value_kind:     hidden_grid_dims
    .group_segment_fixed_size: 72
    .kernarg_segment_align: 8
    .kernarg_segment_size: 304
    .language:       OpenCL C
    .language_version:
      - 2
      - 0
    .max_flat_workgroup_size: 1024
    .name:           _Z30addBiasResidualPostLayerNormV2IfLi64EEvPT_PKS0_S3_S3_S3_fi
    .private_segment_fixed_size: 0
    .sgpr_count:     18
    .sgpr_spill_count: 0
    .symbol:         _Z30addBiasResidualPostLayerNormV2IfLi64EEvPT_PKS0_S3_S3_S3_fi.kd
    .uniform_work_group_size: 1
    .uses_dynamic_stack: false
    .vgpr_count:     36
    .vgpr_spill_count: 0
    .wavefront_size: 32
    .workgroup_processor_mode: 1
  - .args:
      - .address_space:  global
        .offset:         0
        .size:           8
        .value_kind:     global_buffer
      - .actual_access:  read_only
        .address_space:  global
        .offset:         8
        .size:           8
        .value_kind:     global_buffer
      - .actual_access:  read_only
        .address_space:  global
        .offset:         16
        .size:           8
        .value_kind:     global_buffer
      - .actual_access:  read_only
        .address_space:  global
        .offset:         24
        .size:           8
        .value_kind:     global_buffer
      - .actual_access:  read_only
        .address_space:  global
        .offset:         32
        .size:           8
        .value_kind:     global_buffer
      - .offset:         40
        .size:           4
        .value_kind:     by_value
      - .offset:         44
        .size:           4
        .value_kind:     by_value
      - .offset:         48
        .size:           4
        .value_kind:     hidden_block_count_x
      - .offset:         52
        .size:           4
        .value_kind:     hidden_block_count_y
      - .offset:         56
        .size:           4
        .value_kind:     hidden_block_count_z
      - .offset:         60
        .size:           2
        .value_kind:     hidden_group_size_x
      - .offset:         62
        .size:           2
        .value_kind:     hidden_group_size_y
      - .offset:         64
        .size:           2
        .value_kind:     hidden_group_size_z
      - .offset:         66
        .size:           2
        .value_kind:     hidden_remainder_x
      - .offset:         68
        .size:           2
        .value_kind:     hidden_remainder_y
      - .offset:         70
        .size:           2
        .value_kind:     hidden_remainder_z
      - .offset:         88
        .size:           8
        .value_kind:     hidden_global_offset_x
      - .offset:         96
        .size:           8
        .value_kind:     hidden_global_offset_y
      - .offset:         104
        .size:           8
        .value_kind:     hidden_global_offset_z
      - .offset:         112
        .size:           2
        .value_kind:     hidden_grid_dims
    .group_segment_fixed_size: 136
    .kernarg_segment_align: 8
    .kernarg_segment_size: 304
    .language:       OpenCL C
    .language_version:
      - 2
      - 0
    .max_flat_workgroup_size: 1024
    .name:           _Z30addBiasResidualPostLayerNormV2IfLi32EEvPT_PKS0_S3_S3_S3_fi
    .private_segment_fixed_size: 0
    .sgpr_count:     18
    .sgpr_spill_count: 0
    .symbol:         _Z30addBiasResidualPostLayerNormV2IfLi32EEvPT_PKS0_S3_S3_S3_fi.kd
    .uniform_work_group_size: 1
    .uses_dynamic_stack: false
    .vgpr_count:     34
    .vgpr_spill_count: 0
    .wavefront_size: 32
    .workgroup_processor_mode: 1
  - .args:
      - .address_space:  global
        .offset:         0
        .size:           8
        .value_kind:     global_buffer
      - .actual_access:  read_only
        .address_space:  global
        .offset:         8
        .size:           8
        .value_kind:     global_buffer
      - .actual_access:  read_only
        .address_space:  global
        .offset:         16
        .size:           8
        .value_kind:     global_buffer
      - .actual_access:  read_only
        .address_space:  global
        .offset:         24
        .size:           8
        .value_kind:     global_buffer
      - .actual_access:  read_only
        .address_space:  global
        .offset:         32
        .size:           8
        .value_kind:     global_buffer
      - .offset:         40
        .size:           4
        .value_kind:     by_value
      - .offset:         44
        .size:           4
        .value_kind:     by_value
      - .offset:         48
        .size:           4
        .value_kind:     hidden_block_count_x
      - .offset:         52
        .size:           4
        .value_kind:     hidden_block_count_y
      - .offset:         56
        .size:           4
        .value_kind:     hidden_block_count_z
      - .offset:         60
        .size:           2
        .value_kind:     hidden_group_size_x
      - .offset:         62
        .size:           2
        .value_kind:     hidden_group_size_y
      - .offset:         64
        .size:           2
        .value_kind:     hidden_group_size_z
      - .offset:         66
        .size:           2
        .value_kind:     hidden_remainder_x
      - .offset:         68
        .size:           2
        .value_kind:     hidden_remainder_y
      - .offset:         70
        .size:           2
        .value_kind:     hidden_remainder_z
      - .offset:         88
        .size:           8
        .value_kind:     hidden_global_offset_x
      - .offset:         96
        .size:           8
        .value_kind:     hidden_global_offset_y
      - .offset:         104
        .size:           8
        .value_kind:     hidden_global_offset_z
      - .offset:         112
        .size:           2
        .value_kind:     hidden_grid_dims
    .group_segment_fixed_size: 72
    .kernarg_segment_align: 8
    .kernarg_segment_size: 304
    .language:       OpenCL C
    .language_version:
      - 2
      - 0
    .max_flat_workgroup_size: 1024
    .name:           _Z28addBiasResidualPostLayerNormIfLi1ELi64EEvPT_PKS0_S3_S3_S3_fi
    .private_segment_fixed_size: 0
    .sgpr_count:     18
    .sgpr_spill_count: 0
    .symbol:         _Z28addBiasResidualPostLayerNormIfLi1ELi64EEvPT_PKS0_S3_S3_S3_fi.kd
    .uniform_work_group_size: 1
    .uses_dynamic_stack: false
    .vgpr_count:     17
    .vgpr_spill_count: 0
    .wavefront_size: 32
    .workgroup_processor_mode: 1
  - .args:
      - .address_space:  global
        .offset:         0
        .size:           8
        .value_kind:     global_buffer
      - .actual_access:  read_only
        .address_space:  global
        .offset:         8
        .size:           8
        .value_kind:     global_buffer
      - .actual_access:  read_only
        .address_space:  global
        .offset:         16
        .size:           8
        .value_kind:     global_buffer
      - .actual_access:  read_only
        .address_space:  global
        .offset:         24
        .size:           8
        .value_kind:     global_buffer
      - .actual_access:  read_only
        .address_space:  global
        .offset:         32
        .size:           8
        .value_kind:     global_buffer
      - .offset:         40
        .size:           4
        .value_kind:     by_value
      - .offset:         44
        .size:           4
        .value_kind:     by_value
      - .offset:         48
        .size:           4
        .value_kind:     hidden_block_count_x
      - .offset:         52
        .size:           4
        .value_kind:     hidden_block_count_y
      - .offset:         56
        .size:           4
        .value_kind:     hidden_block_count_z
      - .offset:         60
        .size:           2
        .value_kind:     hidden_group_size_x
      - .offset:         62
        .size:           2
        .value_kind:     hidden_group_size_y
      - .offset:         64
        .size:           2
        .value_kind:     hidden_group_size_z
      - .offset:         66
        .size:           2
        .value_kind:     hidden_remainder_x
      - .offset:         68
        .size:           2
        .value_kind:     hidden_remainder_y
      - .offset:         70
        .size:           2
        .value_kind:     hidden_remainder_z
      - .offset:         88
        .size:           8
        .value_kind:     hidden_global_offset_x
      - .offset:         96
        .size:           8
        .value_kind:     hidden_global_offset_y
      - .offset:         104
        .size:           8
        .value_kind:     hidden_global_offset_z
      - .offset:         112
        .size:           2
        .value_kind:     hidden_grid_dims
    .group_segment_fixed_size: 72
    .kernarg_segment_align: 8
    .kernarg_segment_size: 304
    .language:       OpenCL C
    .language_version:
      - 2
      - 0
    .max_flat_workgroup_size: 1024
    .name:           _Z28addBiasResidualPostLayerNormIfLi2ELi64EEvPT_PKS0_S3_S3_S3_fi
    .private_segment_fixed_size: 0
    .sgpr_count:     17
    .sgpr_spill_count: 0
    .symbol:         _Z28addBiasResidualPostLayerNormIfLi2ELi64EEvPT_PKS0_S3_S3_S3_fi.kd
    .uniform_work_group_size: 1
    .uses_dynamic_stack: false
    .vgpr_count:     19
    .vgpr_spill_count: 0
    .wavefront_size: 32
    .workgroup_processor_mode: 1
  - .args:
      - .address_space:  global
        .offset:         0
        .size:           8
        .value_kind:     global_buffer
      - .actual_access:  read_only
        .address_space:  global
        .offset:         8
        .size:           8
        .value_kind:     global_buffer
      - .actual_access:  read_only
        .address_space:  global
        .offset:         16
        .size:           8
        .value_kind:     global_buffer
      - .actual_access:  read_only
        .address_space:  global
        .offset:         24
        .size:           8
        .value_kind:     global_buffer
      - .actual_access:  read_only
        .address_space:  global
        .offset:         32
        .size:           8
        .value_kind:     global_buffer
      - .offset:         40
        .size:           4
        .value_kind:     by_value
      - .offset:         44
        .size:           4
        .value_kind:     by_value
      - .offset:         48
        .size:           4
        .value_kind:     hidden_block_count_x
      - .offset:         52
        .size:           4
        .value_kind:     hidden_block_count_y
      - .offset:         56
        .size:           4
        .value_kind:     hidden_block_count_z
      - .offset:         60
        .size:           2
        .value_kind:     hidden_group_size_x
      - .offset:         62
        .size:           2
        .value_kind:     hidden_group_size_y
      - .offset:         64
        .size:           2
        .value_kind:     hidden_group_size_z
      - .offset:         66
        .size:           2
        .value_kind:     hidden_remainder_x
      - .offset:         68
        .size:           2
        .value_kind:     hidden_remainder_y
      - .offset:         70
        .size:           2
        .value_kind:     hidden_remainder_z
      - .offset:         88
        .size:           8
        .value_kind:     hidden_global_offset_x
      - .offset:         96
        .size:           8
        .value_kind:     hidden_global_offset_y
      - .offset:         104
        .size:           8
        .value_kind:     hidden_global_offset_z
      - .offset:         112
        .size:           2
        .value_kind:     hidden_grid_dims
    .group_segment_fixed_size: 72
    .kernarg_segment_align: 8
    .kernarg_segment_size: 304
    .language:       OpenCL C
    .language_version:
      - 2
      - 0
    .max_flat_workgroup_size: 1024
    .name:           _Z35generalAddBiasResidualPostLayerNormIfLi64EEvPT_PKS0_S3_S3_S3_fi
    .private_segment_fixed_size: 0
    .sgpr_count:     23
    .sgpr_spill_count: 0
    .symbol:         _Z35generalAddBiasResidualPostLayerNormIfLi64EEvPT_PKS0_S3_S3_S3_fi.kd
    .uniform_work_group_size: 1
    .uses_dynamic_stack: false
    .vgpr_count:     15
    .vgpr_spill_count: 0
    .wavefront_size: 32
    .workgroup_processor_mode: 1
  - .args:
      - .address_space:  global
        .offset:         0
        .size:           8
        .value_kind:     global_buffer
      - .actual_access:  read_only
        .address_space:  global
        .offset:         8
        .size:           8
        .value_kind:     global_buffer
      - .actual_access:  read_only
        .address_space:  global
        .offset:         16
        .size:           8
        .value_kind:     global_buffer
      - .actual_access:  read_only
        .address_space:  global
        .offset:         24
        .size:           8
        .value_kind:     global_buffer
      - .actual_access:  read_only
        .address_space:  global
        .offset:         32
        .size:           8
        .value_kind:     global_buffer
      - .offset:         40
        .size:           4
        .value_kind:     by_value
      - .offset:         44
        .size:           4
        .value_kind:     by_value
      - .offset:         48
        .size:           4
        .value_kind:     hidden_block_count_x
      - .offset:         52
        .size:           4
        .value_kind:     hidden_block_count_y
      - .offset:         56
        .size:           4
        .value_kind:     hidden_block_count_z
      - .offset:         60
        .size:           2
        .value_kind:     hidden_group_size_x
      - .offset:         62
        .size:           2
        .value_kind:     hidden_group_size_y
      - .offset:         64
        .size:           2
        .value_kind:     hidden_group_size_z
      - .offset:         66
        .size:           2
        .value_kind:     hidden_remainder_x
      - .offset:         68
        .size:           2
        .value_kind:     hidden_remainder_y
      - .offset:         70
        .size:           2
        .value_kind:     hidden_remainder_z
      - .offset:         88
        .size:           8
        .value_kind:     hidden_global_offset_x
      - .offset:         96
        .size:           8
        .value_kind:     hidden_global_offset_y
      - .offset:         104
        .size:           8
        .value_kind:     hidden_global_offset_z
      - .offset:         112
        .size:           2
        .value_kind:     hidden_grid_dims
    .group_segment_fixed_size: 136
    .kernarg_segment_align: 8
    .kernarg_segment_size: 304
    .language:       OpenCL C
    .language_version:
      - 2
      - 0
    .max_flat_workgroup_size: 1024
    .name:           _Z28addBiasResidualPostLayerNormIfLi1ELi32EEvPT_PKS0_S3_S3_S3_fi
    .private_segment_fixed_size: 0
    .sgpr_count:     18
    .sgpr_spill_count: 0
    .symbol:         _Z28addBiasResidualPostLayerNormIfLi1ELi32EEvPT_PKS0_S3_S3_S3_fi.kd
    .uniform_work_group_size: 1
    .uses_dynamic_stack: false
    .vgpr_count:     16
    .vgpr_spill_count: 0
    .wavefront_size: 32
    .workgroup_processor_mode: 1
  - .args:
      - .address_space:  global
        .offset:         0
        .size:           8
        .value_kind:     global_buffer
      - .actual_access:  read_only
        .address_space:  global
        .offset:         8
        .size:           8
        .value_kind:     global_buffer
      - .actual_access:  read_only
        .address_space:  global
        .offset:         16
        .size:           8
        .value_kind:     global_buffer
      - .actual_access:  read_only
        .address_space:  global
        .offset:         24
        .size:           8
        .value_kind:     global_buffer
      - .actual_access:  read_only
        .address_space:  global
        .offset:         32
        .size:           8
        .value_kind:     global_buffer
      - .offset:         40
        .size:           4
        .value_kind:     by_value
      - .offset:         44
        .size:           4
        .value_kind:     by_value
      - .offset:         48
        .size:           4
        .value_kind:     hidden_block_count_x
      - .offset:         52
        .size:           4
        .value_kind:     hidden_block_count_y
      - .offset:         56
        .size:           4
        .value_kind:     hidden_block_count_z
      - .offset:         60
        .size:           2
        .value_kind:     hidden_group_size_x
      - .offset:         62
        .size:           2
        .value_kind:     hidden_group_size_y
      - .offset:         64
        .size:           2
        .value_kind:     hidden_group_size_z
      - .offset:         66
        .size:           2
        .value_kind:     hidden_remainder_x
      - .offset:         68
        .size:           2
        .value_kind:     hidden_remainder_y
      - .offset:         70
        .size:           2
        .value_kind:     hidden_remainder_z
      - .offset:         88
        .size:           8
        .value_kind:     hidden_global_offset_x
      - .offset:         96
        .size:           8
        .value_kind:     hidden_global_offset_y
      - .offset:         104
        .size:           8
        .value_kind:     hidden_global_offset_z
      - .offset:         112
        .size:           2
        .value_kind:     hidden_grid_dims
    .group_segment_fixed_size: 136
    .kernarg_segment_align: 8
    .kernarg_segment_size: 304
    .language:       OpenCL C
    .language_version:
      - 2
      - 0
    .max_flat_workgroup_size: 1024
    .name:           _Z28addBiasResidualPostLayerNormIfLi2ELi32EEvPT_PKS0_S3_S3_S3_fi
    .private_segment_fixed_size: 0
    .sgpr_count:     17
    .sgpr_spill_count: 0
    .symbol:         _Z28addBiasResidualPostLayerNormIfLi2ELi32EEvPT_PKS0_S3_S3_S3_fi.kd
    .uniform_work_group_size: 1
    .uses_dynamic_stack: false
    .vgpr_count:     18
    .vgpr_spill_count: 0
    .wavefront_size: 32
    .workgroup_processor_mode: 1
  - .args:
      - .address_space:  global
        .offset:         0
        .size:           8
        .value_kind:     global_buffer
      - .actual_access:  read_only
        .address_space:  global
        .offset:         8
        .size:           8
        .value_kind:     global_buffer
      - .actual_access:  read_only
        .address_space:  global
        .offset:         16
        .size:           8
        .value_kind:     global_buffer
      - .actual_access:  read_only
        .address_space:  global
        .offset:         24
        .size:           8
        .value_kind:     global_buffer
      - .actual_access:  read_only
        .address_space:  global
        .offset:         32
        .size:           8
        .value_kind:     global_buffer
      - .offset:         40
        .size:           4
        .value_kind:     by_value
      - .offset:         44
        .size:           4
        .value_kind:     by_value
      - .offset:         48
        .size:           4
        .value_kind:     hidden_block_count_x
      - .offset:         52
        .size:           4
        .value_kind:     hidden_block_count_y
      - .offset:         56
        .size:           4
        .value_kind:     hidden_block_count_z
      - .offset:         60
        .size:           2
        .value_kind:     hidden_group_size_x
      - .offset:         62
        .size:           2
        .value_kind:     hidden_group_size_y
      - .offset:         64
        .size:           2
        .value_kind:     hidden_group_size_z
      - .offset:         66
        .size:           2
        .value_kind:     hidden_remainder_x
      - .offset:         68
        .size:           2
        .value_kind:     hidden_remainder_y
      - .offset:         70
        .size:           2
        .value_kind:     hidden_remainder_z
      - .offset:         88
        .size:           8
        .value_kind:     hidden_global_offset_x
      - .offset:         96
        .size:           8
        .value_kind:     hidden_global_offset_y
      - .offset:         104
        .size:           8
        .value_kind:     hidden_global_offset_z
      - .offset:         112
        .size:           2
        .value_kind:     hidden_grid_dims
    .group_segment_fixed_size: 136
    .kernarg_segment_align: 8
    .kernarg_segment_size: 304
    .language:       OpenCL C
    .language_version:
      - 2
      - 0
    .max_flat_workgroup_size: 1024
    .name:           _Z35generalAddBiasResidualPostLayerNormIfLi32EEvPT_PKS0_S3_S3_S3_fi
    .private_segment_fixed_size: 0
    .sgpr_count:     23
    .sgpr_spill_count: 0
    .symbol:         _Z35generalAddBiasResidualPostLayerNormIfLi32EEvPT_PKS0_S3_S3_S3_fi.kd
    .uniform_work_group_size: 1
    .uses_dynamic_stack: false
    .vgpr_count:     14
    .vgpr_spill_count: 0
    .wavefront_size: 32
    .workgroup_processor_mode: 1
  - .args:
      - .address_space:  global
        .offset:         0
        .size:           8
        .value_kind:     global_buffer
      - .actual_access:  read_only
        .address_space:  global
        .offset:         8
        .size:           8
        .value_kind:     global_buffer
      - .actual_access:  read_only
        .address_space:  global
        .offset:         16
        .size:           8
        .value_kind:     global_buffer
      - .actual_access:  read_only
        .address_space:  global
        .offset:         24
        .size:           8
        .value_kind:     global_buffer
      - .actual_access:  read_only
        .address_space:  global
        .offset:         32
        .size:           8
        .value_kind:     global_buffer
      - .offset:         40
        .size:           4
        .value_kind:     by_value
      - .offset:         44
        .size:           4
        .value_kind:     by_value
      - .offset:         48
        .size:           4
        .value_kind:     hidden_block_count_x
      - .offset:         52
        .size:           4
        .value_kind:     hidden_block_count_y
      - .offset:         56
        .size:           4
        .value_kind:     hidden_block_count_z
      - .offset:         60
        .size:           2
        .value_kind:     hidden_group_size_x
      - .offset:         62
        .size:           2
        .value_kind:     hidden_group_size_y
      - .offset:         64
        .size:           2
        .value_kind:     hidden_group_size_z
      - .offset:         66
        .size:           2
        .value_kind:     hidden_remainder_x
      - .offset:         68
        .size:           2
        .value_kind:     hidden_remainder_y
      - .offset:         70
        .size:           2
        .value_kind:     hidden_remainder_z
      - .offset:         88
        .size:           8
        .value_kind:     hidden_global_offset_x
      - .offset:         96
        .size:           8
        .value_kind:     hidden_global_offset_y
      - .offset:         104
        .size:           8
        .value_kind:     hidden_global_offset_z
      - .offset:         112
        .size:           2
        .value_kind:     hidden_grid_dims
    .group_segment_fixed_size: 72
    .kernarg_segment_align: 8
    .kernarg_segment_size: 304
    .language:       OpenCL C
    .language_version:
      - 2
      - 0
    .max_flat_workgroup_size: 1024
    .name:           _Z30addBiasResidualPostLayerNormV2I6__halfLi64EEvPT_PKS1_S4_S4_S4_fi
    .private_segment_fixed_size: 0
    .sgpr_count:     18
    .sgpr_spill_count: 0
    .symbol:         _Z30addBiasResidualPostLayerNormV2I6__halfLi64EEvPT_PKS1_S4_S4_S4_fi.kd
    .uniform_work_group_size: 1
    .uses_dynamic_stack: false
    .vgpr_count:     23
    .vgpr_spill_count: 0
    .wavefront_size: 32
    .workgroup_processor_mode: 1
  - .args:
      - .address_space:  global
        .offset:         0
        .size:           8
        .value_kind:     global_buffer
      - .actual_access:  read_only
        .address_space:  global
        .offset:         8
        .size:           8
        .value_kind:     global_buffer
      - .actual_access:  read_only
        .address_space:  global
        .offset:         16
        .size:           8
        .value_kind:     global_buffer
      - .actual_access:  read_only
        .address_space:  global
        .offset:         24
        .size:           8
        .value_kind:     global_buffer
      - .actual_access:  read_only
        .address_space:  global
        .offset:         32
        .size:           8
        .value_kind:     global_buffer
      - .offset:         40
        .size:           4
        .value_kind:     by_value
      - .offset:         44
        .size:           4
        .value_kind:     by_value
      - .offset:         48
        .size:           4
        .value_kind:     hidden_block_count_x
      - .offset:         52
        .size:           4
        .value_kind:     hidden_block_count_y
      - .offset:         56
        .size:           4
        .value_kind:     hidden_block_count_z
      - .offset:         60
        .size:           2
        .value_kind:     hidden_group_size_x
      - .offset:         62
        .size:           2
        .value_kind:     hidden_group_size_y
      - .offset:         64
        .size:           2
        .value_kind:     hidden_group_size_z
      - .offset:         66
        .size:           2
        .value_kind:     hidden_remainder_x
      - .offset:         68
        .size:           2
        .value_kind:     hidden_remainder_y
      - .offset:         70
        .size:           2
        .value_kind:     hidden_remainder_z
      - .offset:         88
        .size:           8
        .value_kind:     hidden_global_offset_x
      - .offset:         96
        .size:           8
        .value_kind:     hidden_global_offset_y
      - .offset:         104
        .size:           8
        .value_kind:     hidden_global_offset_z
      - .offset:         112
        .size:           2
        .value_kind:     hidden_grid_dims
    .group_segment_fixed_size: 136
    .kernarg_segment_align: 8
    .kernarg_segment_size: 304
    .language:       OpenCL C
    .language_version:
      - 2
      - 0
    .max_flat_workgroup_size: 1024
    .name:           _Z30addBiasResidualPostLayerNormV2I6__halfLi32EEvPT_PKS1_S4_S4_S4_fi
    .private_segment_fixed_size: 0
    .sgpr_count:     17
    .sgpr_spill_count: 0
    .symbol:         _Z30addBiasResidualPostLayerNormV2I6__halfLi32EEvPT_PKS1_S4_S4_S4_fi.kd
    .uniform_work_group_size: 1
    .uses_dynamic_stack: false
    .vgpr_count:     26
    .vgpr_spill_count: 0
    .wavefront_size: 32
    .workgroup_processor_mode: 1
  - .args:
      - .address_space:  global
        .offset:         0
        .size:           8
        .value_kind:     global_buffer
      - .actual_access:  read_only
        .address_space:  global
        .offset:         8
        .size:           8
        .value_kind:     global_buffer
      - .actual_access:  read_only
        .address_space:  global
        .offset:         16
        .size:           8
        .value_kind:     global_buffer
      - .actual_access:  read_only
        .address_space:  global
        .offset:         24
        .size:           8
        .value_kind:     global_buffer
      - .actual_access:  read_only
        .address_space:  global
        .offset:         32
        .size:           8
        .value_kind:     global_buffer
      - .offset:         40
        .size:           4
        .value_kind:     by_value
      - .offset:         44
        .size:           4
        .value_kind:     by_value
      - .offset:         48
        .size:           4
        .value_kind:     hidden_block_count_x
      - .offset:         52
        .size:           4
        .value_kind:     hidden_block_count_y
      - .offset:         56
        .size:           4
        .value_kind:     hidden_block_count_z
      - .offset:         60
        .size:           2
        .value_kind:     hidden_group_size_x
      - .offset:         62
        .size:           2
        .value_kind:     hidden_group_size_y
      - .offset:         64
        .size:           2
        .value_kind:     hidden_group_size_z
      - .offset:         66
        .size:           2
        .value_kind:     hidden_remainder_x
      - .offset:         68
        .size:           2
        .value_kind:     hidden_remainder_y
      - .offset:         70
        .size:           2
        .value_kind:     hidden_remainder_z
      - .offset:         88
        .size:           8
        .value_kind:     hidden_global_offset_x
      - .offset:         96
        .size:           8
        .value_kind:     hidden_global_offset_y
      - .offset:         104
        .size:           8
        .value_kind:     hidden_global_offset_z
      - .offset:         112
        .size:           2
        .value_kind:     hidden_grid_dims
    .group_segment_fixed_size: 72
    .kernarg_segment_align: 8
    .kernarg_segment_size: 304
    .language:       OpenCL C
    .language_version:
      - 2
      - 0
    .max_flat_workgroup_size: 1024
    .name:           _Z28addBiasResidualPostLayerNormI6__halfLi1ELi64EEvPT_PKS1_S4_S4_S4_fi
    .private_segment_fixed_size: 0
    .sgpr_count:     18
    .sgpr_spill_count: 0
    .symbol:         _Z28addBiasResidualPostLayerNormI6__halfLi1ELi64EEvPT_PKS1_S4_S4_S4_fi.kd
    .uniform_work_group_size: 1
    .uses_dynamic_stack: false
    .vgpr_count:     17
    .vgpr_spill_count: 0
    .wavefront_size: 32
    .workgroup_processor_mode: 1
  - .args:
      - .address_space:  global
        .offset:         0
        .size:           8
        .value_kind:     global_buffer
      - .actual_access:  read_only
        .address_space:  global
        .offset:         8
        .size:           8
        .value_kind:     global_buffer
      - .actual_access:  read_only
        .address_space:  global
        .offset:         16
        .size:           8
        .value_kind:     global_buffer
      - .actual_access:  read_only
        .address_space:  global
        .offset:         24
        .size:           8
        .value_kind:     global_buffer
      - .actual_access:  read_only
        .address_space:  global
        .offset:         32
        .size:           8
        .value_kind:     global_buffer
      - .offset:         40
        .size:           4
        .value_kind:     by_value
      - .offset:         44
        .size:           4
        .value_kind:     by_value
      - .offset:         48
        .size:           4
        .value_kind:     hidden_block_count_x
      - .offset:         52
        .size:           4
        .value_kind:     hidden_block_count_y
      - .offset:         56
        .size:           4
        .value_kind:     hidden_block_count_z
      - .offset:         60
        .size:           2
        .value_kind:     hidden_group_size_x
      - .offset:         62
        .size:           2
        .value_kind:     hidden_group_size_y
      - .offset:         64
        .size:           2
        .value_kind:     hidden_group_size_z
      - .offset:         66
        .size:           2
        .value_kind:     hidden_remainder_x
      - .offset:         68
        .size:           2
        .value_kind:     hidden_remainder_y
      - .offset:         70
        .size:           2
        .value_kind:     hidden_remainder_z
      - .offset:         88
        .size:           8
        .value_kind:     hidden_global_offset_x
      - .offset:         96
        .size:           8
        .value_kind:     hidden_global_offset_y
      - .offset:         104
        .size:           8
        .value_kind:     hidden_global_offset_z
      - .offset:         112
        .size:           2
        .value_kind:     hidden_grid_dims
    .group_segment_fixed_size: 72
    .kernarg_segment_align: 8
    .kernarg_segment_size: 304
    .language:       OpenCL C
    .language_version:
      - 2
      - 0
    .max_flat_workgroup_size: 1024
    .name:           _Z28addBiasResidualPostLayerNormI6__halfLi2ELi64EEvPT_PKS1_S4_S4_S4_fi
    .private_segment_fixed_size: 0
    .sgpr_count:     17
    .sgpr_spill_count: 0
    .symbol:         _Z28addBiasResidualPostLayerNormI6__halfLi2ELi64EEvPT_PKS1_S4_S4_S4_fi.kd
    .uniform_work_group_size: 1
    .uses_dynamic_stack: false
    .vgpr_count:     19
    .vgpr_spill_count: 0
    .wavefront_size: 32
    .workgroup_processor_mode: 1
  - .args:
      - .address_space:  global
        .offset:         0
        .size:           8
        .value_kind:     global_buffer
      - .actual_access:  read_only
        .address_space:  global
        .offset:         8
        .size:           8
        .value_kind:     global_buffer
      - .actual_access:  read_only
        .address_space:  global
        .offset:         16
        .size:           8
        .value_kind:     global_buffer
      - .actual_access:  read_only
        .address_space:  global
        .offset:         24
        .size:           8
        .value_kind:     global_buffer
      - .actual_access:  read_only
        .address_space:  global
        .offset:         32
        .size:           8
        .value_kind:     global_buffer
      - .offset:         40
        .size:           4
        .value_kind:     by_value
      - .offset:         44
        .size:           4
        .value_kind:     by_value
      - .offset:         48
        .size:           4
        .value_kind:     hidden_block_count_x
      - .offset:         52
        .size:           4
        .value_kind:     hidden_block_count_y
      - .offset:         56
        .size:           4
        .value_kind:     hidden_block_count_z
      - .offset:         60
        .size:           2
        .value_kind:     hidden_group_size_x
      - .offset:         62
        .size:           2
        .value_kind:     hidden_group_size_y
      - .offset:         64
        .size:           2
        .value_kind:     hidden_group_size_z
      - .offset:         66
        .size:           2
        .value_kind:     hidden_remainder_x
      - .offset:         68
        .size:           2
        .value_kind:     hidden_remainder_y
      - .offset:         70
        .size:           2
        .value_kind:     hidden_remainder_z
      - .offset:         88
        .size:           8
        .value_kind:     hidden_global_offset_x
      - .offset:         96
        .size:           8
        .value_kind:     hidden_global_offset_y
      - .offset:         104
        .size:           8
        .value_kind:     hidden_global_offset_z
      - .offset:         112
        .size:           2
        .value_kind:     hidden_grid_dims
    .group_segment_fixed_size: 72
    .kernarg_segment_align: 8
    .kernarg_segment_size: 304
    .language:       OpenCL C
    .language_version:
      - 2
      - 0
    .max_flat_workgroup_size: 1024
    .name:           _Z35generalAddBiasResidualPostLayerNormI6__halfLi64EEvPT_PKS1_S4_S4_S4_fi
    .private_segment_fixed_size: 0
    .sgpr_count:     23
    .sgpr_spill_count: 0
    .symbol:         _Z35generalAddBiasResidualPostLayerNormI6__halfLi64EEvPT_PKS1_S4_S4_S4_fi.kd
    .uniform_work_group_size: 1
    .uses_dynamic_stack: false
    .vgpr_count:     16
    .vgpr_spill_count: 0
    .wavefront_size: 32
    .workgroup_processor_mode: 1
  - .args:
      - .address_space:  global
        .offset:         0
        .size:           8
        .value_kind:     global_buffer
      - .actual_access:  read_only
        .address_space:  global
        .offset:         8
        .size:           8
        .value_kind:     global_buffer
      - .actual_access:  read_only
        .address_space:  global
        .offset:         16
        .size:           8
        .value_kind:     global_buffer
      - .actual_access:  read_only
        .address_space:  global
        .offset:         24
        .size:           8
        .value_kind:     global_buffer
      - .actual_access:  read_only
        .address_space:  global
        .offset:         32
        .size:           8
        .value_kind:     global_buffer
      - .offset:         40
        .size:           4
        .value_kind:     by_value
      - .offset:         44
        .size:           4
        .value_kind:     by_value
      - .offset:         48
        .size:           4
        .value_kind:     hidden_block_count_x
      - .offset:         52
        .size:           4
        .value_kind:     hidden_block_count_y
      - .offset:         56
        .size:           4
        .value_kind:     hidden_block_count_z
      - .offset:         60
        .size:           2
        .value_kind:     hidden_group_size_x
      - .offset:         62
        .size:           2
        .value_kind:     hidden_group_size_y
      - .offset:         64
        .size:           2
        .value_kind:     hidden_group_size_z
      - .offset:         66
        .size:           2
        .value_kind:     hidden_remainder_x
      - .offset:         68
        .size:           2
        .value_kind:     hidden_remainder_y
      - .offset:         70
        .size:           2
        .value_kind:     hidden_remainder_z
      - .offset:         88
        .size:           8
        .value_kind:     hidden_global_offset_x
      - .offset:         96
        .size:           8
        .value_kind:     hidden_global_offset_y
      - .offset:         104
        .size:           8
        .value_kind:     hidden_global_offset_z
      - .offset:         112
        .size:           2
        .value_kind:     hidden_grid_dims
    .group_segment_fixed_size: 136
    .kernarg_segment_align: 8
    .kernarg_segment_size: 304
    .language:       OpenCL C
    .language_version:
      - 2
      - 0
    .max_flat_workgroup_size: 1024
    .name:           _Z28addBiasResidualPostLayerNormI6__halfLi1ELi32EEvPT_PKS1_S4_S4_S4_fi
    .private_segment_fixed_size: 0
    .sgpr_count:     18
    .sgpr_spill_count: 0
    .symbol:         _Z28addBiasResidualPostLayerNormI6__halfLi1ELi32EEvPT_PKS1_S4_S4_S4_fi.kd
    .uniform_work_group_size: 1
    .uses_dynamic_stack: false
    .vgpr_count:     16
    .vgpr_spill_count: 0
    .wavefront_size: 32
    .workgroup_processor_mode: 1
  - .args:
      - .address_space:  global
        .offset:         0
        .size:           8
        .value_kind:     global_buffer
      - .actual_access:  read_only
        .address_space:  global
        .offset:         8
        .size:           8
        .value_kind:     global_buffer
      - .actual_access:  read_only
        .address_space:  global
        .offset:         16
        .size:           8
        .value_kind:     global_buffer
      - .actual_access:  read_only
        .address_space:  global
        .offset:         24
        .size:           8
        .value_kind:     global_buffer
      - .actual_access:  read_only
        .address_space:  global
        .offset:         32
        .size:           8
        .value_kind:     global_buffer
      - .offset:         40
        .size:           4
        .value_kind:     by_value
      - .offset:         44
        .size:           4
        .value_kind:     by_value
      - .offset:         48
        .size:           4
        .value_kind:     hidden_block_count_x
      - .offset:         52
        .size:           4
        .value_kind:     hidden_block_count_y
      - .offset:         56
        .size:           4
        .value_kind:     hidden_block_count_z
      - .offset:         60
        .size:           2
        .value_kind:     hidden_group_size_x
      - .offset:         62
        .size:           2
        .value_kind:     hidden_group_size_y
      - .offset:         64
        .size:           2
        .value_kind:     hidden_group_size_z
      - .offset:         66
        .size:           2
        .value_kind:     hidden_remainder_x
      - .offset:         68
        .size:           2
        .value_kind:     hidden_remainder_y
      - .offset:         70
        .size:           2
        .value_kind:     hidden_remainder_z
      - .offset:         88
        .size:           8
        .value_kind:     hidden_global_offset_x
      - .offset:         96
        .size:           8
        .value_kind:     hidden_global_offset_y
      - .offset:         104
        .size:           8
        .value_kind:     hidden_global_offset_z
      - .offset:         112
        .size:           2
        .value_kind:     hidden_grid_dims
    .group_segment_fixed_size: 136
    .kernarg_segment_align: 8
    .kernarg_segment_size: 304
    .language:       OpenCL C
    .language_version:
      - 2
      - 0
    .max_flat_workgroup_size: 1024
    .name:           _Z28addBiasResidualPostLayerNormI6__halfLi2ELi32EEvPT_PKS1_S4_S4_S4_fi
    .private_segment_fixed_size: 0
    .sgpr_count:     17
    .sgpr_spill_count: 0
    .symbol:         _Z28addBiasResidualPostLayerNormI6__halfLi2ELi32EEvPT_PKS1_S4_S4_S4_fi.kd
    .uniform_work_group_size: 1
    .uses_dynamic_stack: false
    .vgpr_count:     18
    .vgpr_spill_count: 0
    .wavefront_size: 32
    .workgroup_processor_mode: 1
  - .args:
      - .address_space:  global
        .offset:         0
        .size:           8
        .value_kind:     global_buffer
      - .actual_access:  read_only
        .address_space:  global
        .offset:         8
        .size:           8
        .value_kind:     global_buffer
      - .actual_access:  read_only
        .address_space:  global
        .offset:         16
        .size:           8
        .value_kind:     global_buffer
      - .actual_access:  read_only
        .address_space:  global
        .offset:         24
        .size:           8
        .value_kind:     global_buffer
      - .actual_access:  read_only
        .address_space:  global
        .offset:         32
        .size:           8
        .value_kind:     global_buffer
      - .offset:         40
        .size:           4
        .value_kind:     by_value
      - .offset:         44
        .size:           4
        .value_kind:     by_value
      - .offset:         48
        .size:           4
        .value_kind:     hidden_block_count_x
      - .offset:         52
        .size:           4
        .value_kind:     hidden_block_count_y
      - .offset:         56
        .size:           4
        .value_kind:     hidden_block_count_z
      - .offset:         60
        .size:           2
        .value_kind:     hidden_group_size_x
      - .offset:         62
        .size:           2
        .value_kind:     hidden_group_size_y
      - .offset:         64
        .size:           2
        .value_kind:     hidden_group_size_z
      - .offset:         66
        .size:           2
        .value_kind:     hidden_remainder_x
      - .offset:         68
        .size:           2
        .value_kind:     hidden_remainder_y
      - .offset:         70
        .size:           2
        .value_kind:     hidden_remainder_z
      - .offset:         88
        .size:           8
        .value_kind:     hidden_global_offset_x
      - .offset:         96
        .size:           8
        .value_kind:     hidden_global_offset_y
      - .offset:         104
        .size:           8
        .value_kind:     hidden_global_offset_z
      - .offset:         112
        .size:           2
        .value_kind:     hidden_grid_dims
    .group_segment_fixed_size: 136
    .kernarg_segment_align: 8
    .kernarg_segment_size: 304
    .language:       OpenCL C
    .language_version:
      - 2
      - 0
    .max_flat_workgroup_size: 1024
    .name:           _Z35generalAddBiasResidualPostLayerNormI6__halfLi32EEvPT_PKS1_S4_S4_S4_fi
    .private_segment_fixed_size: 0
    .sgpr_count:     23
    .sgpr_spill_count: 0
    .symbol:         _Z35generalAddBiasResidualPostLayerNormI6__halfLi32EEvPT_PKS1_S4_S4_S4_fi.kd
    .uniform_work_group_size: 1
    .uses_dynamic_stack: false
    .vgpr_count:     15
    .vgpr_spill_count: 0
    .wavefront_size: 32
    .workgroup_processor_mode: 1
  - .args:
      - .address_space:  global
        .offset:         0
        .size:           8
        .value_kind:     global_buffer
      - .actual_access:  read_only
        .address_space:  global
        .offset:         8
        .size:           8
        .value_kind:     global_buffer
      - .actual_access:  read_only
        .address_space:  global
        .offset:         16
        .size:           8
        .value_kind:     global_buffer
      - .actual_access:  read_only
        .address_space:  global
        .offset:         24
        .size:           8
        .value_kind:     global_buffer
      - .actual_access:  read_only
        .address_space:  global
        .offset:         32
        .size:           8
        .value_kind:     global_buffer
      - .offset:         40
        .size:           4
        .value_kind:     by_value
      - .offset:         44
        .size:           4
        .value_kind:     by_value
      - .offset:         48
        .size:           4
        .value_kind:     hidden_block_count_x
      - .offset:         52
        .size:           4
        .value_kind:     hidden_block_count_y
      - .offset:         56
        .size:           4
        .value_kind:     hidden_block_count_z
      - .offset:         60
        .size:           2
        .value_kind:     hidden_group_size_x
      - .offset:         62
        .size:           2
        .value_kind:     hidden_group_size_y
      - .offset:         64
        .size:           2
        .value_kind:     hidden_group_size_z
      - .offset:         66
        .size:           2
        .value_kind:     hidden_remainder_x
      - .offset:         68
        .size:           2
        .value_kind:     hidden_remainder_y
      - .offset:         70
        .size:           2
        .value_kind:     hidden_remainder_z
      - .offset:         88
        .size:           8
        .value_kind:     hidden_global_offset_x
      - .offset:         96
        .size:           8
        .value_kind:     hidden_global_offset_y
      - .offset:         104
        .size:           8
        .value_kind:     hidden_global_offset_z
      - .offset:         112
        .size:           2
        .value_kind:     hidden_grid_dims
    .group_segment_fixed_size: 72
    .kernarg_segment_align: 8
    .kernarg_segment_size: 304
    .language:       OpenCL C
    .language_version:
      - 2
      - 0
    .max_flat_workgroup_size: 1024
    .name:           _Z30addBiasResidualPostLayerNormV2I14__hip_bfloat16Li64EEvPT_PKS1_S4_S4_S4_fi
    .private_segment_fixed_size: 0
    .sgpr_count:     18
    .sgpr_spill_count: 0
    .symbol:         _Z30addBiasResidualPostLayerNormV2I14__hip_bfloat16Li64EEvPT_PKS1_S4_S4_S4_fi.kd
    .uniform_work_group_size: 1
    .uses_dynamic_stack: false
    .vgpr_count:     40
    .vgpr_spill_count: 0
    .wavefront_size: 32
    .workgroup_processor_mode: 1
  - .args:
      - .address_space:  global
        .offset:         0
        .size:           8
        .value_kind:     global_buffer
      - .actual_access:  read_only
        .address_space:  global
        .offset:         8
        .size:           8
        .value_kind:     global_buffer
      - .actual_access:  read_only
        .address_space:  global
        .offset:         16
        .size:           8
        .value_kind:     global_buffer
      - .actual_access:  read_only
        .address_space:  global
        .offset:         24
        .size:           8
        .value_kind:     global_buffer
      - .actual_access:  read_only
        .address_space:  global
        .offset:         32
        .size:           8
        .value_kind:     global_buffer
      - .offset:         40
        .size:           4
        .value_kind:     by_value
      - .offset:         44
        .size:           4
        .value_kind:     by_value
      - .offset:         48
        .size:           4
        .value_kind:     hidden_block_count_x
      - .offset:         52
        .size:           4
        .value_kind:     hidden_block_count_y
      - .offset:         56
        .size:           4
        .value_kind:     hidden_block_count_z
      - .offset:         60
        .size:           2
        .value_kind:     hidden_group_size_x
      - .offset:         62
        .size:           2
        .value_kind:     hidden_group_size_y
      - .offset:         64
        .size:           2
        .value_kind:     hidden_group_size_z
      - .offset:         66
        .size:           2
        .value_kind:     hidden_remainder_x
      - .offset:         68
        .size:           2
        .value_kind:     hidden_remainder_y
      - .offset:         70
        .size:           2
        .value_kind:     hidden_remainder_z
      - .offset:         88
        .size:           8
        .value_kind:     hidden_global_offset_x
      - .offset:         96
        .size:           8
        .value_kind:     hidden_global_offset_y
      - .offset:         104
        .size:           8
        .value_kind:     hidden_global_offset_z
      - .offset:         112
        .size:           2
        .value_kind:     hidden_grid_dims
    .group_segment_fixed_size: 136
    .kernarg_segment_align: 8
    .kernarg_segment_size: 304
    .language:       OpenCL C
    .language_version:
      - 2
      - 0
    .max_flat_workgroup_size: 1024
    .name:           _Z30addBiasResidualPostLayerNormV2I14__hip_bfloat16Li32EEvPT_PKS1_S4_S4_S4_fi
    .private_segment_fixed_size: 0
    .sgpr_count:     17
    .sgpr_spill_count: 0
    .symbol:         _Z30addBiasResidualPostLayerNormV2I14__hip_bfloat16Li32EEvPT_PKS1_S4_S4_S4_fi.kd
    .uniform_work_group_size: 1
    .uses_dynamic_stack: false
    .vgpr_count:     41
    .vgpr_spill_count: 0
    .wavefront_size: 32
    .workgroup_processor_mode: 1
  - .args:
      - .address_space:  global
        .offset:         0
        .size:           8
        .value_kind:     global_buffer
      - .actual_access:  read_only
        .address_space:  global
        .offset:         8
        .size:           8
        .value_kind:     global_buffer
      - .actual_access:  read_only
        .address_space:  global
        .offset:         16
        .size:           8
        .value_kind:     global_buffer
      - .actual_access:  read_only
        .address_space:  global
        .offset:         24
        .size:           8
        .value_kind:     global_buffer
      - .actual_access:  read_only
        .address_space:  global
        .offset:         32
        .size:           8
        .value_kind:     global_buffer
      - .offset:         40
        .size:           4
        .value_kind:     by_value
      - .offset:         44
        .size:           4
        .value_kind:     by_value
      - .offset:         48
        .size:           4
        .value_kind:     hidden_block_count_x
      - .offset:         52
        .size:           4
        .value_kind:     hidden_block_count_y
      - .offset:         56
        .size:           4
        .value_kind:     hidden_block_count_z
      - .offset:         60
        .size:           2
        .value_kind:     hidden_group_size_x
      - .offset:         62
        .size:           2
        .value_kind:     hidden_group_size_y
      - .offset:         64
        .size:           2
        .value_kind:     hidden_group_size_z
      - .offset:         66
        .size:           2
        .value_kind:     hidden_remainder_x
      - .offset:         68
        .size:           2
        .value_kind:     hidden_remainder_y
      - .offset:         70
        .size:           2
        .value_kind:     hidden_remainder_z
      - .offset:         88
        .size:           8
        .value_kind:     hidden_global_offset_x
      - .offset:         96
        .size:           8
        .value_kind:     hidden_global_offset_y
      - .offset:         104
        .size:           8
        .value_kind:     hidden_global_offset_z
      - .offset:         112
        .size:           2
        .value_kind:     hidden_grid_dims
    .group_segment_fixed_size: 72
    .kernarg_segment_align: 8
    .kernarg_segment_size: 304
    .language:       OpenCL C
    .language_version:
      - 2
      - 0
    .max_flat_workgroup_size: 1024
    .name:           _Z28addBiasResidualPostLayerNormI14__hip_bfloat16Li1ELi64EEvPT_PKS1_S4_S4_S4_fi
    .private_segment_fixed_size: 0
    .sgpr_count:     18
    .sgpr_spill_count: 0
    .symbol:         _Z28addBiasResidualPostLayerNormI14__hip_bfloat16Li1ELi64EEvPT_PKS1_S4_S4_S4_fi.kd
    .uniform_work_group_size: 1
    .uses_dynamic_stack: false
    .vgpr_count:     17
    .vgpr_spill_count: 0
    .wavefront_size: 32
    .workgroup_processor_mode: 1
  - .args:
      - .address_space:  global
        .offset:         0
        .size:           8
        .value_kind:     global_buffer
      - .actual_access:  read_only
        .address_space:  global
        .offset:         8
        .size:           8
        .value_kind:     global_buffer
      - .actual_access:  read_only
        .address_space:  global
        .offset:         16
        .size:           8
        .value_kind:     global_buffer
      - .actual_access:  read_only
        .address_space:  global
        .offset:         24
        .size:           8
        .value_kind:     global_buffer
      - .actual_access:  read_only
        .address_space:  global
        .offset:         32
        .size:           8
        .value_kind:     global_buffer
      - .offset:         40
        .size:           4
        .value_kind:     by_value
      - .offset:         44
        .size:           4
        .value_kind:     by_value
      - .offset:         48
        .size:           4
        .value_kind:     hidden_block_count_x
      - .offset:         52
        .size:           4
        .value_kind:     hidden_block_count_y
      - .offset:         56
        .size:           4
        .value_kind:     hidden_block_count_z
      - .offset:         60
        .size:           2
        .value_kind:     hidden_group_size_x
      - .offset:         62
        .size:           2
        .value_kind:     hidden_group_size_y
      - .offset:         64
        .size:           2
        .value_kind:     hidden_group_size_z
      - .offset:         66
        .size:           2
        .value_kind:     hidden_remainder_x
      - .offset:         68
        .size:           2
        .value_kind:     hidden_remainder_y
      - .offset:         70
        .size:           2
        .value_kind:     hidden_remainder_z
      - .offset:         88
        .size:           8
        .value_kind:     hidden_global_offset_x
      - .offset:         96
        .size:           8
        .value_kind:     hidden_global_offset_y
      - .offset:         104
        .size:           8
        .value_kind:     hidden_global_offset_z
      - .offset:         112
        .size:           2
        .value_kind:     hidden_grid_dims
    .group_segment_fixed_size: 72
    .kernarg_segment_align: 8
    .kernarg_segment_size: 304
    .language:       OpenCL C
    .language_version:
      - 2
      - 0
    .max_flat_workgroup_size: 1024
    .name:           _Z28addBiasResidualPostLayerNormI14__hip_bfloat16Li2ELi64EEvPT_PKS1_S4_S4_S4_fi
    .private_segment_fixed_size: 0
    .sgpr_count:     17
    .sgpr_spill_count: 0
    .symbol:         _Z28addBiasResidualPostLayerNormI14__hip_bfloat16Li2ELi64EEvPT_PKS1_S4_S4_S4_fi.kd
    .uniform_work_group_size: 1
    .uses_dynamic_stack: false
    .vgpr_count:     19
    .vgpr_spill_count: 0
    .wavefront_size: 32
    .workgroup_processor_mode: 1
  - .args:
      - .address_space:  global
        .offset:         0
        .size:           8
        .value_kind:     global_buffer
      - .actual_access:  read_only
        .address_space:  global
        .offset:         8
        .size:           8
        .value_kind:     global_buffer
      - .actual_access:  read_only
        .address_space:  global
        .offset:         16
        .size:           8
        .value_kind:     global_buffer
      - .actual_access:  read_only
        .address_space:  global
        .offset:         24
        .size:           8
        .value_kind:     global_buffer
      - .actual_access:  read_only
        .address_space:  global
        .offset:         32
        .size:           8
        .value_kind:     global_buffer
      - .offset:         40
        .size:           4
        .value_kind:     by_value
      - .offset:         44
        .size:           4
        .value_kind:     by_value
      - .offset:         48
        .size:           4
        .value_kind:     hidden_block_count_x
      - .offset:         52
        .size:           4
        .value_kind:     hidden_block_count_y
      - .offset:         56
        .size:           4
        .value_kind:     hidden_block_count_z
      - .offset:         60
        .size:           2
        .value_kind:     hidden_group_size_x
      - .offset:         62
        .size:           2
        .value_kind:     hidden_group_size_y
      - .offset:         64
        .size:           2
        .value_kind:     hidden_group_size_z
      - .offset:         66
        .size:           2
        .value_kind:     hidden_remainder_x
      - .offset:         68
        .size:           2
        .value_kind:     hidden_remainder_y
      - .offset:         70
        .size:           2
        .value_kind:     hidden_remainder_z
      - .offset:         88
        .size:           8
        .value_kind:     hidden_global_offset_x
      - .offset:         96
        .size:           8
        .value_kind:     hidden_global_offset_y
      - .offset:         104
        .size:           8
        .value_kind:     hidden_global_offset_z
      - .offset:         112
        .size:           2
        .value_kind:     hidden_grid_dims
    .group_segment_fixed_size: 72
    .kernarg_segment_align: 8
    .kernarg_segment_size: 304
    .language:       OpenCL C
    .language_version:
      - 2
      - 0
    .max_flat_workgroup_size: 1024
    .name:           _Z35generalAddBiasResidualPostLayerNormI14__hip_bfloat16Li64EEvPT_PKS1_S4_S4_S4_fi
    .private_segment_fixed_size: 0
    .sgpr_count:     23
    .sgpr_spill_count: 0
    .symbol:         _Z35generalAddBiasResidualPostLayerNormI14__hip_bfloat16Li64EEvPT_PKS1_S4_S4_S4_fi.kd
    .uniform_work_group_size: 1
    .uses_dynamic_stack: false
    .vgpr_count:     16
    .vgpr_spill_count: 0
    .wavefront_size: 32
    .workgroup_processor_mode: 1
  - .args:
      - .address_space:  global
        .offset:         0
        .size:           8
        .value_kind:     global_buffer
      - .actual_access:  read_only
        .address_space:  global
        .offset:         8
        .size:           8
        .value_kind:     global_buffer
      - .actual_access:  read_only
        .address_space:  global
        .offset:         16
        .size:           8
        .value_kind:     global_buffer
      - .actual_access:  read_only
        .address_space:  global
        .offset:         24
        .size:           8
        .value_kind:     global_buffer
      - .actual_access:  read_only
        .address_space:  global
        .offset:         32
        .size:           8
        .value_kind:     global_buffer
      - .offset:         40
        .size:           4
        .value_kind:     by_value
      - .offset:         44
        .size:           4
        .value_kind:     by_value
      - .offset:         48
        .size:           4
        .value_kind:     hidden_block_count_x
      - .offset:         52
        .size:           4
        .value_kind:     hidden_block_count_y
      - .offset:         56
        .size:           4
        .value_kind:     hidden_block_count_z
      - .offset:         60
        .size:           2
        .value_kind:     hidden_group_size_x
      - .offset:         62
        .size:           2
        .value_kind:     hidden_group_size_y
      - .offset:         64
        .size:           2
        .value_kind:     hidden_group_size_z
      - .offset:         66
        .size:           2
        .value_kind:     hidden_remainder_x
      - .offset:         68
        .size:           2
        .value_kind:     hidden_remainder_y
      - .offset:         70
        .size:           2
        .value_kind:     hidden_remainder_z
      - .offset:         88
        .size:           8
        .value_kind:     hidden_global_offset_x
      - .offset:         96
        .size:           8
        .value_kind:     hidden_global_offset_y
      - .offset:         104
        .size:           8
        .value_kind:     hidden_global_offset_z
      - .offset:         112
        .size:           2
        .value_kind:     hidden_grid_dims
    .group_segment_fixed_size: 136
    .kernarg_segment_align: 8
    .kernarg_segment_size: 304
    .language:       OpenCL C
    .language_version:
      - 2
      - 0
    .max_flat_workgroup_size: 1024
    .name:           _Z28addBiasResidualPostLayerNormI14__hip_bfloat16Li1ELi32EEvPT_PKS1_S4_S4_S4_fi
    .private_segment_fixed_size: 0
    .sgpr_count:     18
    .sgpr_spill_count: 0
    .symbol:         _Z28addBiasResidualPostLayerNormI14__hip_bfloat16Li1ELi32EEvPT_PKS1_S4_S4_S4_fi.kd
    .uniform_work_group_size: 1
    .uses_dynamic_stack: false
    .vgpr_count:     16
    .vgpr_spill_count: 0
    .wavefront_size: 32
    .workgroup_processor_mode: 1
  - .args:
      - .address_space:  global
        .offset:         0
        .size:           8
        .value_kind:     global_buffer
      - .actual_access:  read_only
        .address_space:  global
        .offset:         8
        .size:           8
        .value_kind:     global_buffer
      - .actual_access:  read_only
        .address_space:  global
        .offset:         16
        .size:           8
        .value_kind:     global_buffer
      - .actual_access:  read_only
        .address_space:  global
        .offset:         24
        .size:           8
        .value_kind:     global_buffer
      - .actual_access:  read_only
        .address_space:  global
        .offset:         32
        .size:           8
        .value_kind:     global_buffer
      - .offset:         40
        .size:           4
        .value_kind:     by_value
      - .offset:         44
        .size:           4
        .value_kind:     by_value
      - .offset:         48
        .size:           4
        .value_kind:     hidden_block_count_x
      - .offset:         52
        .size:           4
        .value_kind:     hidden_block_count_y
      - .offset:         56
        .size:           4
        .value_kind:     hidden_block_count_z
      - .offset:         60
        .size:           2
        .value_kind:     hidden_group_size_x
      - .offset:         62
        .size:           2
        .value_kind:     hidden_group_size_y
      - .offset:         64
        .size:           2
        .value_kind:     hidden_group_size_z
      - .offset:         66
        .size:           2
        .value_kind:     hidden_remainder_x
      - .offset:         68
        .size:           2
        .value_kind:     hidden_remainder_y
      - .offset:         70
        .size:           2
        .value_kind:     hidden_remainder_z
      - .offset:         88
        .size:           8
        .value_kind:     hidden_global_offset_x
      - .offset:         96
        .size:           8
        .value_kind:     hidden_global_offset_y
      - .offset:         104
        .size:           8
        .value_kind:     hidden_global_offset_z
      - .offset:         112
        .size:           2
        .value_kind:     hidden_grid_dims
    .group_segment_fixed_size: 136
    .kernarg_segment_align: 8
    .kernarg_segment_size: 304
    .language:       OpenCL C
    .language_version:
      - 2
      - 0
    .max_flat_workgroup_size: 1024
    .name:           _Z28addBiasResidualPostLayerNormI14__hip_bfloat16Li2ELi32EEvPT_PKS1_S4_S4_S4_fi
    .private_segment_fixed_size: 0
    .sgpr_count:     17
    .sgpr_spill_count: 0
    .symbol:         _Z28addBiasResidualPostLayerNormI14__hip_bfloat16Li2ELi32EEvPT_PKS1_S4_S4_S4_fi.kd
    .uniform_work_group_size: 1
    .uses_dynamic_stack: false
    .vgpr_count:     18
    .vgpr_spill_count: 0
    .wavefront_size: 32
    .workgroup_processor_mode: 1
  - .args:
      - .address_space:  global
        .offset:         0
        .size:           8
        .value_kind:     global_buffer
      - .actual_access:  read_only
        .address_space:  global
        .offset:         8
        .size:           8
        .value_kind:     global_buffer
      - .actual_access:  read_only
        .address_space:  global
        .offset:         16
        .size:           8
        .value_kind:     global_buffer
      - .actual_access:  read_only
        .address_space:  global
        .offset:         24
        .size:           8
        .value_kind:     global_buffer
      - .actual_access:  read_only
        .address_space:  global
        .offset:         32
        .size:           8
        .value_kind:     global_buffer
      - .offset:         40
        .size:           4
        .value_kind:     by_value
      - .offset:         44
        .size:           4
        .value_kind:     by_value
      - .offset:         48
        .size:           4
        .value_kind:     hidden_block_count_x
      - .offset:         52
        .size:           4
        .value_kind:     hidden_block_count_y
      - .offset:         56
        .size:           4
        .value_kind:     hidden_block_count_z
      - .offset:         60
        .size:           2
        .value_kind:     hidden_group_size_x
      - .offset:         62
        .size:           2
        .value_kind:     hidden_group_size_y
      - .offset:         64
        .size:           2
        .value_kind:     hidden_group_size_z
      - .offset:         66
        .size:           2
        .value_kind:     hidden_remainder_x
      - .offset:         68
        .size:           2
        .value_kind:     hidden_remainder_y
      - .offset:         70
        .size:           2
        .value_kind:     hidden_remainder_z
      - .offset:         88
        .size:           8
        .value_kind:     hidden_global_offset_x
      - .offset:         96
        .size:           8
        .value_kind:     hidden_global_offset_y
      - .offset:         104
        .size:           8
        .value_kind:     hidden_global_offset_z
      - .offset:         112
        .size:           2
        .value_kind:     hidden_grid_dims
    .group_segment_fixed_size: 136
    .kernarg_segment_align: 8
    .kernarg_segment_size: 304
    .language:       OpenCL C
    .language_version:
      - 2
      - 0
    .max_flat_workgroup_size: 1024
    .name:           _Z35generalAddBiasResidualPostLayerNormI14__hip_bfloat16Li32EEvPT_PKS1_S4_S4_S4_fi
    .private_segment_fixed_size: 0
    .sgpr_count:     23
    .sgpr_spill_count: 0
    .symbol:         _Z35generalAddBiasResidualPostLayerNormI14__hip_bfloat16Li32EEvPT_PKS1_S4_S4_S4_fi.kd
    .uniform_work_group_size: 1
    .uses_dynamic_stack: false
    .vgpr_count:     15
    .vgpr_spill_count: 0
    .wavefront_size: 32
    .workgroup_processor_mode: 1
amdhsa.target:   amdgcn-amd-amdhsa--gfx1201
amdhsa.version:
  - 1
  - 2
...

	.end_amdgpu_metadata
